;; amdgpu-corpus repo=ROCm/rocFFT kind=compiled arch=gfx1201 opt=O3
	.text
	.amdgcn_target "amdgcn-amd-amdhsa--gfx1201"
	.amdhsa_code_object_version 6
	.protected	bluestein_single_back_len1540_dim1_half_op_CI_CI ; -- Begin function bluestein_single_back_len1540_dim1_half_op_CI_CI
	.globl	bluestein_single_back_len1540_dim1_half_op_CI_CI
	.p2align	8
	.type	bluestein_single_back_len1540_dim1_half_op_CI_CI,@function
bluestein_single_back_len1540_dim1_half_op_CI_CI: ; @bluestein_single_back_len1540_dim1_half_op_CI_CI
; %bb.0:
	s_load_b128 s[4:7], s[0:1], 0x28
	v_mul_u32_u24_e32 v1, 0x1aa, v0
	s_mov_b32 s2, exec_lo
	v_mov_b32_e32 v13, 0
	s_delay_alu instid0(VALU_DEP_2) | instskip(NEXT) | instid1(VALU_DEP_1)
	v_lshrrev_b32_e32 v1, 16, v1
	v_add_nc_u32_e32 v12, ttmp9, v1
	s_wait_kmcnt 0x0
	s_delay_alu instid0(VALU_DEP_1)
	v_cmpx_gt_u64_e64 s[4:5], v[12:13]
	s_cbranch_execz .LBB0_23
; %bb.1:
	s_clause 0x1
	s_load_b64 s[14:15], s[0:1], 0x0
	s_load_b64 s[12:13], s[0:1], 0x38
	v_mul_lo_u16 v1, 0x9a, v1
	s_delay_alu instid0(VALU_DEP_1) | instskip(NEXT) | instid1(VALU_DEP_1)
	v_sub_nc_u16 v0, v0, v1
	v_and_b32_e32 v32, 0xffff, v0
	v_cmp_gt_u16_e32 vcc_lo, 0x8c, v0
	s_delay_alu instid0(VALU_DEP_2)
	v_lshlrev_b32_e32 v31, 2, v32
	s_and_saveexec_b32 s3, vcc_lo
	s_cbranch_execz .LBB0_3
; %bb.2:
	s_load_b64 s[4:5], s[0:1], 0x18
	s_wait_kmcnt 0x0
	s_load_b128 s[8:11], s[4:5], 0x0
	s_wait_kmcnt 0x0
	v_mad_co_u64_u32 v[0:1], null, s10, v12, 0
	v_mad_co_u64_u32 v[2:3], null, s8, v32, 0
	s_mul_u64 s[4:5], s[8:9], 0x230
	s_delay_alu instid0(VALU_DEP_1) | instskip(NEXT) | instid1(VALU_DEP_1)
	v_mad_co_u64_u32 v[4:5], null, s11, v12, v[1:2]
	v_mad_co_u64_u32 v[5:6], null, s9, v32, v[3:4]
	v_mov_b32_e32 v1, v4
	s_delay_alu instid0(VALU_DEP_1) | instskip(NEXT) | instid1(VALU_DEP_3)
	v_lshlrev_b64_e32 v[0:1], 2, v[0:1]
	v_mov_b32_e32 v3, v5
	s_clause 0x9
	global_load_b32 v4, v31, s[14:15]
	global_load_b32 v5, v31, s[14:15] offset:560
	global_load_b32 v6, v31, s[14:15] offset:1120
	;; [unrolled: 1-line block ×9, first 2 shown]
	v_lshlrev_b64_e32 v[2:3], 2, v[2:3]
	v_add_co_u32 v0, s2, s6, v0
	s_delay_alu instid0(VALU_DEP_1) | instskip(NEXT) | instid1(VALU_DEP_2)
	v_add_co_ci_u32_e64 v1, s2, s7, v1, s2
	v_add_co_u32 v0, s2, v0, v2
	s_wait_alu 0xf1ff
	s_delay_alu instid0(VALU_DEP_2) | instskip(SKIP_1) | instid1(VALU_DEP_2)
	v_add_co_ci_u32_e64 v1, s2, v1, v3, s2
	s_wait_alu 0xfffe
	v_add_co_u32 v2, s2, v0, s4
	s_wait_alu 0xf1ff
	s_delay_alu instid0(VALU_DEP_2)
	v_add_co_ci_u32_e64 v3, s2, s5, v1, s2
	global_load_b32 v15, v[0:1], off
	v_add_co_u32 v0, s2, v2, s4
	s_wait_alu 0xf1ff
	v_add_co_ci_u32_e64 v1, s2, s5, v3, s2
	global_load_b32 v16, v[2:3], off
	global_load_b32 v17, v31, s[14:15] offset:5600
	global_load_b32 v18, v[0:1], off
	v_add_co_u32 v0, s2, v0, s4
	s_wait_alu 0xf1ff
	v_add_co_ci_u32_e64 v1, s2, s5, v1, s2
	s_delay_alu instid0(VALU_DEP_2) | instskip(SKIP_1) | instid1(VALU_DEP_2)
	v_add_co_u32 v2, s2, v0, s4
	s_wait_alu 0xf1ff
	v_add_co_ci_u32_e64 v3, s2, s5, v1, s2
	global_load_b32 v19, v[0:1], off
	v_add_co_u32 v0, s2, v2, s4
	s_wait_alu 0xf1ff
	v_add_co_ci_u32_e64 v1, s2, s5, v3, s2
	global_load_b32 v20, v[2:3], off
	global_load_b32 v21, v[0:1], off
	v_add_co_u32 v0, s2, v0, s4
	s_wait_alu 0xf1ff
	v_add_co_ci_u32_e64 v1, s2, s5, v1, s2
	s_delay_alu instid0(VALU_DEP_2) | instskip(SKIP_1) | instid1(VALU_DEP_2)
	v_add_co_u32 v2, s2, v0, s4
	s_wait_alu 0xf1ff
	v_add_co_ci_u32_e64 v3, s2, s5, v1, s2
	global_load_b32 v22, v[0:1], off
	v_add_co_u32 v0, s2, v2, s4
	s_wait_alu 0xf1ff
	v_add_co_ci_u32_e64 v1, s2, s5, v3, s2
	global_load_b32 v23, v[2:3], off
	;; [unrolled: 4-line block ×4, first 2 shown]
	global_load_b32 v0, v[0:1], off
	v_add_nc_u32_e32 v1, 0x400, v31
	v_add_nc_u32_e32 v3, 0x800, v31
	s_wait_loadcnt 0x15
	v_lshrrev_b32_e32 v25, 16, v4
	s_wait_loadcnt 0x14
	v_lshrrev_b32_e32 v26, 16, v5
	;; [unrolled: 2-line block ×11, first 2 shown]
	v_mul_f16_e32 v38, v25, v15
	s_wait_loadcnt 0xa
	v_lshrrev_b32_e32 v39, 16, v16
	s_delay_alu instid0(VALU_DEP_3)
	v_mul_f16_e32 v25, v25, v34
	v_mul_f16_e32 v41, v26, v16
	v_fma_f16 v34, v4, v34, -v38
	s_wait_loadcnt 0x8
	v_mul_f16_e32 v38, v27, v18
	v_lshrrev_b32_e32 v40, 16, v17
	v_fmac_f16_e32 v25, v4, v15
	v_mul_f16_e32 v4, v26, v39
	v_lshrrev_b32_e32 v15, 16, v18
	v_fma_f16 v26, v5, v39, -v41
	s_delay_alu instid0(VALU_DEP_4) | instskip(NEXT) | instid1(VALU_DEP_4)
	v_pack_b32_f16 v25, v25, v34
	v_fmac_f16_e32 v4, v5, v16
	s_delay_alu instid0(VALU_DEP_4)
	v_mul_f16_e32 v5, v27, v15
	s_wait_loadcnt 0x7
	v_lshrrev_b32_e32 v16, 16, v19
	v_mul_f16_e32 v27, v28, v19
	v_fma_f16 v15, v6, v15, -v38
	v_pack_b32_f16 v4, v4, v26
	v_fmac_f16_e32 v5, v6, v18
	v_mul_f16_e32 v6, v28, v16
	s_wait_loadcnt 0x6
	v_lshrrev_b32_e32 v18, 16, v20
	v_fma_f16 v16, v7, v16, -v27
	v_mul_f16_e32 v26, v29, v20
	ds_store_2addr_b32 v31, v25, v4 offset1:140
	v_pack_b32_f16 v4, v5, v15
	v_fmac_f16_e32 v6, v7, v19
	v_mul_f16_e32 v5, v29, v18
	s_wait_loadcnt 0x5
	v_lshrrev_b32_e32 v7, 16, v21
	v_fma_f16 v15, v8, v18, -v26
	v_mul_f16_e32 v18, v30, v21
	v_pack_b32_f16 v6, v6, v16
	v_fmac_f16_e32 v5, v8, v20
	v_mul_f16_e32 v8, v30, v7
	s_wait_loadcnt 0x4
	v_lshrrev_b32_e32 v16, 16, v22
	v_fma_f16 v7, v9, v7, -v18
	v_mul_f16_e32 v18, v33, v22
	;; [unrolled: 7-line block ×4, first 2 shown]
	v_pack_b32_f16 v9, v9, v16
	v_fmac_f16_e32 v8, v11, v23
	s_wait_loadcnt 0x1
	v_lshrrev_b32_e32 v16, 16, v2
	s_wait_loadcnt 0x0
	v_lshrrev_b32_e32 v19, 16, v0
	v_mul_f16_e32 v11, v36, v10
	v_fma_f16 v10, v13, v10, -v18
	v_mul_f16_e32 v18, v37, v2
	v_pack_b32_f16 v8, v8, v15
	v_mul_f16_e32 v15, v37, v16
	v_mul_f16_e32 v20, v40, v19
	;; [unrolled: 1-line block ×3, first 2 shown]
	v_fmac_f16_e32 v11, v13, v24
	v_fma_f16 v13, v14, v16, -v18
	v_fmac_f16_e32 v15, v14, v2
	v_add_nc_u32_e32 v2, 0xc00, v31
	v_fmac_f16_e32 v20, v17, v0
	v_fma_f16 v0, v17, v19, -v21
	v_pack_b32_f16 v10, v11, v10
	v_pack_b32_f16 v11, v15, v13
	v_add_nc_u32_e32 v13, 0x1000, v31
	s_delay_alu instid0(VALU_DEP_4)
	v_pack_b32_f16 v0, v20, v0
	ds_store_2addr_b32 v1, v4, v6 offset0:24 offset1:164
	ds_store_2addr_b32 v3, v5, v7 offset0:48 offset1:188
	;; [unrolled: 1-line block ×4, first 2 shown]
	ds_store_b32 v31, v0 offset:5600
.LBB0_3:
	s_or_b32 exec_lo, exec_lo, s3
	s_clause 0x1
	s_load_b64 s[4:5], s[0:1], 0x20
	s_load_b64 s[2:3], s[0:1], 0x8
	v_mov_b32_e32 v0, 0
                                        ; kill: def $vgpr1 killed $sgpr0 killed $exec
	global_wb scope:SCOPE_SE
	s_wait_dscnt 0x0
	s_wait_kmcnt 0x0
	s_barrier_signal -1
	s_barrier_wait -1
	global_inv scope:SCOPE_SE
                                        ; implicit-def: $vgpr8
                                        ; implicit-def: $vgpr3
                                        ; implicit-def: $vgpr5
                                        ; implicit-def: $vgpr7
                                        ; implicit-def: $vgpr11
	s_and_saveexec_b32 s0, vcc_lo
	s_cbranch_execz .LBB0_5
; %bb.4:
	v_add_nc_u32_e32 v2, 0x400, v31
	v_add_nc_u32_e32 v3, 0x800, v31
	;; [unrolled: 1-line block ×4, first 2 shown]
	ds_load_2addr_b32 v[0:1], v31 offset1:140
	ds_load_2addr_b32 v[10:11], v2 offset0:24 offset1:164
	ds_load_2addr_b32 v[6:7], v3 offset0:48 offset1:188
	;; [unrolled: 1-line block ×4, first 2 shown]
	ds_load_b32 v8, v31 offset:5600
.LBB0_5:
	s_wait_alu 0xfffe
	s_or_b32 exec_lo, exec_lo, s0
	s_wait_dscnt 0x0
	v_pk_add_f16 v13, v1, v8 neg_lo:[0,1] neg_hi:[0,1]
	v_pk_add_f16 v15, v10, v3 neg_lo:[0,1] neg_hi:[0,1]
	v_pk_add_f16 v18, v8, v1
	v_pk_add_f16 v14, v11, v2 neg_lo:[0,1] neg_hi:[0,1]
	v_pk_add_f16 v19, v3, v10
	v_lshrrev_b32_e32 v38, 16, v13
	v_lshrrev_b32_e32 v39, 16, v15
	;; [unrolled: 1-line block ×3, first 2 shown]
	v_mul_f16_e32 v29, 0xb853, v13
	v_lshrrev_b32_e32 v40, 16, v14
	v_mul_f16_e32 v27, 0xb853, v38
	v_mul_f16_e32 v24, 0xbb47, v39
	v_lshrrev_b32_e32 v23, 16, v0
	v_lshrrev_b32_e32 v43, 16, v19
	v_mul_f16_e32 v28, 0xbb47, v15
	v_fmamk_f16 v16, v18, 0x3abb, v27
	v_fma_f16 v9, v44, 0x3abb, -v29
	v_fmamk_f16 v22, v19, 0x36a6, v24
	v_pk_add_f16 v21, v2, v11
	v_mul_f16_e32 v26, 0xbbeb, v40
	v_add_f16_e32 v16, v16, v0
	v_fma_f16 v20, v43, 0x36a6, -v28
	v_add_f16_e32 v9, v9, v23
	v_pk_add_f16 v17, v6, v5 neg_lo:[0,1] neg_hi:[0,1]
	v_lshrrev_b32_e32 v45, 16, v21
	v_add_f16_e32 v16, v22, v16
	v_fmamk_f16 v22, v21, 0xb08e, v26
	v_add_f16_e32 v9, v20, v9
	v_mul_f16_e32 v35, 0xbbeb, v14
	v_lshrrev_b32_e32 v41, 16, v17
	v_pk_add_f16 v20, v5, v6
	v_add_f16_e32 v25, v22, v16
	v_pk_add_f16 v16, v7, v4 neg_lo:[0,1] neg_hi:[0,1]
	v_fma_f16 v30, v45, 0xb08e, -v35
	v_mul_f16_e32 v33, 0xba0c, v41
	v_lshrrev_b32_e32 v46, 16, v20
	v_mul_f16_e32 v36, 0xba0c, v17
	v_lshrrev_b32_e32 v42, 16, v16
	v_pk_add_f16 v22, v4, v7
	v_add_f16_e32 v9, v30, v9
	v_fmamk_f16 v34, v20, 0xb93d, v33
	v_fma_f16 v48, v46, 0xb93d, -v36
	v_mul_f16_e32 v30, 0xb482, v42
	v_lshrrev_b32_e32 v47, 16, v22
	v_mul_f16_e32 v37, 0xb482, v16
	v_add_f16_e32 v25, v34, v25
	v_add_f16_e32 v34, v48, v9
	v_fmamk_f16 v9, v22, 0xbbad, v30
	global_wb scope:SCOPE_SE
	v_fma_f16 v48, v47, 0xbbad, -v37
	s_barrier_signal -1
	s_barrier_wait -1
	v_add_f16_e32 v9, v9, v25
	global_inv scope:SCOPE_SE
	v_add_f16_e32 v25, v48, v34
	v_mul_lo_u16 v34, v32, 11
	s_and_saveexec_b32 s0, vcc_lo
	s_cbranch_execz .LBB0_7
; %bb.6:
	v_mul_f16_e32 v67, 0xbb47, v38
	v_mul_f16_e32 v72, 0xba0c, v39
	v_mul_f16_e32 v74, 0xb08e, v44
	v_mul_f16_e32 v76, 0x3482, v40
	v_mul_f16_e32 v78, 0xbbad, v43
	v_fmamk_f16 v71, v18, 0x36a6, v67
	v_fmamk_f16 v75, v19, 0xb93d, v72
	;; [unrolled: 1-line block ×3, first 2 shown]
	v_mul_f16_e32 v79, 0x3beb, v41
	v_pk_mul_f16 v55, 0x36a6b08e, v18
	v_add_f16_e32 v71, v71, v0
	v_fmamk_f16 v80, v15, 0xb482, v78
	v_add_f16_e32 v77, v77, v23
	v_mul_f16_e32 v81, 0x36a6, v45
	v_mul_f16_e32 v82, 0x3853, v42
	v_add_f16_e32 v71, v75, v71
	v_fmamk_f16 v75, v21, 0xbbad, v76
	v_pk_mul_f16 v59, 0xb93dbbad, v19
	v_pk_fma_f16 v60, 0xbbebbb47, v13, v55 op_sel:[0,0,1] op_sel_hi:[1,1,0] neg_lo:[0,1,0] neg_hi:[0,1,0]
	v_add_f16_e32 v77, v80, v77
	v_fmamk_f16 v80, v14, 0xbb47, v81
	v_add_f16_e32 v71, v75, v71
	v_fmamk_f16 v75, v20, 0xb08e, v79
	v_mul_f16_e32 v83, 0x3abb, v46
	v_pk_fma_f16 v55, 0xbbebbb47, v13, v55 op_sel:[0,0,1] op_sel_hi:[1,1,0]
	v_mul_f16_e32 v49, 0x3abb, v44
	v_pk_mul_f16 v61, 0xbbad36a6, v21
	v_add_f16_e32 v71, v75, v71
	v_fmamk_f16 v75, v22, 0x3abb, v82
	v_pk_fma_f16 v64, 0x3482ba0c, v15, v59 op_sel:[0,0,1] op_sel_hi:[1,1,0] neg_lo:[0,1,0] neg_hi:[0,1,0]
	v_add_f16_e32 v77, v80, v77
	v_fmamk_f16 v80, v17, 0x3853, v83
	v_pk_fma_f16 v59, 0x3482ba0c, v15, v59 op_sel:[0,0,1] op_sel_hi:[1,1,0]
	v_add_f16_e32 v71, v75, v71
	s_wait_alu 0xfffe
	v_alignbit_b32 v75, s0, v55, 16
	v_mul_f16_e32 v44, 0xb93d, v44
	v_mul_f16_e32 v51, 0x36a6, v43
	v_pk_fma_f16 v66, 0x3b473482, v14, v61 op_sel:[0,0,1] op_sel_hi:[1,1,0] neg_lo:[0,1,0] neg_hi:[0,1,0]
	v_add_f16_e32 v77, v80, v77
	v_mul_f16_e32 v80, 0xb93d, v47
	v_pk_add_f16 v75, v75, v0
	v_alignbit_b32 v84, s0, v59, 16
	v_pk_fma_f16 v61, 0x3b473482, v14, v61 op_sel:[0,0,1] op_sel_hi:[1,1,0]
	v_fmamk_f16 v85, v13, 0x3a0c, v44
	v_mul_f16_e32 v43, 0xb08e, v43
	v_pk_add_f16 v1, v1, v0
	v_mul_f16_e32 v53, 0xb08e, v45
	v_fmamk_f16 v86, v16, 0x3a0c, v80
	v_pk_add_f16 v75, v84, v75
	v_alignbit_b32 v84, s0, v61, 16
	v_add_f16_e32 v85, v85, v23
	v_fmamk_f16 v87, v15, 0xbbeb, v43
	v_mul_f16_e32 v45, 0x3abb, v45
	v_mul_f16_e32 v38, 0xba0c, v38
	v_pk_add_f16 v1, v10, v1
	v_add_f16_e32 v77, v86, v77
	v_pk_add_f16 v75, v84, v75
	v_add_f16_e32 v84, v87, v85
	v_fmamk_f16 v85, v14, 0x3853, v45
	v_fmamk_f16 v86, v18, 0xb93d, v38
	v_mul_f16_e32 v39, 0x3beb, v39
	v_fma_f16 v38, v18, 0xb93d, -v38
	v_pk_add_f16 v1, v11, v1
	v_mul_f16_e32 v48, 0x3abb, v18
	v_add_f16_e32 v84, v85, v84
	v_add_f16_e32 v85, v86, v0
	v_fmamk_f16 v86, v19, 0xb08e, v39
	v_mul_f16_e32 v40, 0xb853, v40
	v_fmac_f16_e32 v44, 0xba0c, v13
	v_add_f16_e32 v38, v38, v0
	v_fma_f16 v39, v19, 0xb08e, -v39
	v_fmac_f16_e32 v74, 0xbbeb, v13
	v_add_f16_e32 v29, v29, v49
	v_pk_add_f16 v1, v6, v1
	v_mul_f16_e32 v50, 0x36a6, v19
	v_add_f16_e32 v65, v60, v23
	v_add_f16_e32 v85, v86, v85
	v_fmamk_f16 v86, v21, 0x3abb, v40
	v_add_f16_e32 v44, v44, v23
	v_add_f16_e32 v38, v39, v38
	v_fma_f16 v39, v21, 0x3abb, -v40
	v_add_f16_e32 v40, v74, v23
	v_add_f16_e32 v10, v29, v23
	v_add_f16_e32 v23, v28, v51
	v_sub_f16_e32 v27, v48, v27
	v_pk_add_f16 v1, v7, v1
	v_mul_f16_e32 v52, 0xb08e, v21
	v_mul_f16_e32 v56, 0xb93d, v46
	v_add_f16_e32 v10, v23, v10
	v_add_f16_e32 v23, v35, v53
	v_add_f16_e32 v27, v27, v0
	v_sub_f16_e32 v6, v50, v24
	v_pk_add_f16 v1, v4, v1
	v_mul_f16_e32 v54, 0xb93d, v20
	v_mul_f16_e32 v58, 0xbbad, v47
	;; [unrolled: 7-line block ×3, first 2 shown]
	v_add_f16_e32 v10, v23, v10
	v_add_f16_e32 v4, v37, v58
	;; [unrolled: 1-line block ×3, first 2 shown]
	v_sub_f16_e32 v7, v54, v33
	v_bfi_b32 v5, 0xffff, v55, v60
	v_pk_add_f16 v1, v2, v1
	v_fmac_f16_e32 v43, 0x3beb, v15
	v_add_f16_e32 v85, v86, v85
	v_fmamk_f16 v86, v20, 0xbbad, v41
	v_mul_f16_e32 v42, 0x3b47, v42
	v_add_f16_e32 v38, v39, v38
	v_fma_f16 v39, v20, 0xbbad, -v41
	v_add_f16_e32 v4, v4, v10
	v_add_f16_e32 v6, v7, v6
	v_sub_f16_e32 v7, v57, v30
	v_pk_add_f16 v5, v5, v0 op_sel:[0,1] op_sel_hi:[1,0]
	v_bfi_b32 v10, 0xffff, v59, v64
	v_pk_add_f16 v1, v3, v1
	v_pk_mul_f16 v3, 0xbbad, v18 op_sel_hi:[0,1]
	v_pk_mul_f16 v63, 0xb08e3abb, v20
	v_alignbit_b32 v62, s0, v0, 16
	v_add_f16_e32 v43, v43, v44
	v_add_f16_e32 v44, v86, v85
	v_fmamk_f16 v85, v22, 0x36a6, v42
	v_add_f16_e32 v38, v39, v38
	v_fma_f16 v39, v22, 0x36a6, -v42
	v_fma_f16 v42, v18, 0x36a6, -v67
	v_add_f16_e32 v6, v7, v6
	v_pk_add_f16 v5, v10, v5
	v_bfi_b32 v7, 0xffff, v61, v66
	v_pk_add_f16 v1, v8, v1
	v_pk_fma_f16 v8, 0xb482, v13, v3 op_sel:[0,0,1] op_sel_hi:[0,1,0] neg_lo:[0,1,0] neg_hi:[0,1,0]
	v_pk_mul_f16 v10, 0x3abb, v19 op_sel_hi:[0,1]
	v_pk_fma_f16 v68, 0xb8533beb, v17, v63 op_sel:[0,0,1] op_sel_hi:[1,1,0] neg_lo:[0,1,0] neg_hi:[0,1,0]
	v_pk_fma_f16 v63, 0xb8533beb, v17, v63 op_sel:[0,0,1] op_sel_hi:[1,1,0]
	v_pk_fma_f16 v3, 0xb482, v13, v3 op_sel:[0,0,1] op_sel_hi:[0,1,0]
	v_add_f16_e32 v38, v39, v38
	v_add_f16_e32 v39, v42, v0
	v_fma_f16 v42, v19, 0xb93d, -v72
	v_pk_add_f16 v5, v7, v5
	v_pk_add_f16 v7, v8, v62
	v_pk_fma_f16 v18, 0x3853, v15, v10 op_sel:[0,0,1] op_sel_hi:[0,1,0] neg_lo:[0,1,0] neg_hi:[0,1,0]
	v_pk_mul_f16 v19, 0xb93d, v21 op_sel_hi:[0,1]
	v_alignbit_b32 v8, s0, v8, 16
	v_pk_mul_f16 v69, 0x3abbb93d, v22
	v_pack_b32_f16 v4, v6, v4
	v_bfi_b32 v6, 0xffff, v63, v68
	v_pk_add_f16 v3, v3, v0 op_sel:[0,1] op_sel_hi:[1,0]
	v_pk_fma_f16 v10, 0x3853, v15, v10 op_sel:[0,0,1] op_sel_hi:[0,1,0]
	v_pk_fma_f16 v13, 0xba0c, v14, v19 op_sel:[0,0,1] op_sel_hi:[0,1,0] neg_lo:[0,1,0] neg_hi:[0,1,0]
	v_pk_add_f16 v0, v8, v0
	v_alignbit_b32 v8, s0, v18, 16
	v_fmac_f16_e32 v78, 0x3482, v15
	v_pk_fma_f16 v73, 0xba0c3853, v16, v69 op_sel:[0,0,1] op_sel_hi:[1,1,0] neg_lo:[0,1,0] neg_hi:[0,1,0]
	v_pk_add_f16 v5, v6, v5
	v_pk_fma_f16 v6, 0xba0c3853, v16, v69 op_sel:[0,0,1] op_sel_hi:[1,1,0]
	v_pk_add_f16 v7, v18, v7
	v_pk_mul_f16 v15, 0x36a6, v20 op_sel_hi:[0,1]
	v_pk_add_f16 v3, v10, v3
	v_pk_fma_f16 v10, 0xba0c, v14, v19 op_sel:[0,0,1] op_sel_hi:[0,1,0]
	v_mul_f16_e32 v46, 0xbbad, v46
	v_pk_add_f16 v0, v8, v0
	v_alignbit_b32 v8, s0, v13, 16
	v_add_f16_e32 v40, v78, v40
	v_fmac_f16_e32 v81, 0x3b47, v14
	v_add_f16_e32 v39, v42, v39
	v_fma_f16 v42, v21, 0xbbad, -v76
	v_fmac_f16_e32 v45, 0xb853, v14
	v_bfi_b32 v6, 0xffff, v6, v73
	v_pk_add_f16 v7, v13, v7
	v_pk_fma_f16 v14, 0x3b47, v17, v15 op_sel:[0,0,1] op_sel_hi:[0,1,0] neg_lo:[0,1,0] neg_hi:[0,1,0]
	v_pk_mul_f16 v18, 0xb08e, v22 op_sel_hi:[0,1]
	v_pk_add_f16 v3, v10, v3
	v_pk_fma_f16 v10, 0x3b47, v17, v15 op_sel:[0,0,1] op_sel_hi:[0,1,0]
	v_pk_mul_f16 v70, 0xba0c3853, v16
	v_fmamk_f16 v87, v17, 0x3482, v46
	v_mul_f16_e32 v47, 0x36a6, v47
	v_mul_f16_e32 v88, 0x3b47, v16
	v_pk_add_f16 v0, v8, v0
	v_lshlrev_b32_e32 v8, 16, v75
	v_add_f16_e32 v65, v64, v65
	v_add_f16_e32 v40, v81, v40
	v_fmac_f16_e32 v83, 0xb853, v17
	v_add_f16_e32 v28, v42, v39
	v_fma_f16 v11, v20, 0xb08e, -v79
	v_add_f16_e32 v43, v45, v43
	v_fmac_f16_e32 v46, 0xb482, v17
	v_pk_add_f16 v5, v6, v5
	v_pk_add_f16 v6, v14, v7
	v_pk_fma_f16 v7, 0xbbeb, v16, v18 op_sel:[0,0,1] op_sel_hi:[0,1,0] neg_lo:[0,1,0] neg_hi:[0,1,0]
	v_pk_add_f16 v3, v10, v3
	v_alignbit_b32 v10, s0, v14, 16
	v_pack_b32_f16 v13, v87, v69
	v_bfi_b32 v14, 0xffff, v84, v70
	v_pk_add_f16 v15, v47, v88 neg_lo:[0,1] neg_hi:[0,1]
	v_pk_add_f16 v8, v63, v8
	v_add_f16_e32 v65, v66, v65
	v_add_f16_e32 v40, v83, v40
	v_fmac_f16_e32 v80, 0xba0c, v16
	v_add_f16_e32 v11, v11, v28
	v_fma_f16 v24, v22, 0x3abb, -v82
	v_add_f16_e32 v41, v46, v43
	v_fmamk_f16 v43, v16, 0x3b47, v47
	v_pk_fma_f16 v16, 0xbbeb, v16, v18 op_sel:[0,0,1] op_sel_hi:[0,1,0]
	v_pk_add_f16 v0, v10, v0
	v_alignbit_b32 v10, s0, v7, 16
	v_pk_add_f16 v13, v13, v14
	v_bfi_b32 v8, 0xffff, v15, v8
	v_add_f16_e32 v65, v68, v65
	v_and_b32_e32 v2, 0xffff, v34
	v_add_f16_e32 v40, v80, v40
	v_add_f16_e32 v11, v24, v11
	;; [unrolled: 1-line block ×3, first 2 shown]
	v_pk_add_f16 v6, v7, v6
	v_pk_add_f16 v3, v16, v3
	;; [unrolled: 1-line block ×3, first 2 shown]
	v_add_f16_e32 v44, v85, v44
	v_pk_add_f16 v7, v8, v13
	v_add_f16_e32 v65, v73, v65
	v_lshlrev_b32_e32 v2, 2, v2
	v_alignbit_b32 v14, v40, v5, 16
	v_pack_b32_f16 v5, v11, v5
	v_pack_b32_f16 v8, v38, v41
	v_alignbit_b32 v6, v6, v3, 16
	v_pack_b32_f16 v0, v0, v3
	v_alignbit_b32 v3, v77, v7, 16
	v_pack_b32_f16 v7, v44, v7
	v_pack_b32_f16 v10, v71, v65
	v_perm_b32 v11, v25, v9, 0x5040100
	ds_store_2addr_b32 v2, v1, v4 offset1:1
	ds_store_2addr_b32 v2, v5, v14 offset0:2 offset1:3
	ds_store_b32 v2, v8 offset:16
	ds_store_2addr_b32 v2, v0, v6 offset0:5 offset1:6
	ds_store_2addr_b32 v2, v7, v3 offset0:7 offset1:8
	;; [unrolled: 1-line block ×3, first 2 shown]
.LBB0_7:
	s_wait_alu 0xfffe
	s_or_b32 exec_lo, exec_lo, s0
	v_and_b32_e32 v0, 0xff, v32
	v_add_co_u32 v3, null, 0x134, v32
	v_add_co_u32 v4, null, 0x1ce, v32
	s_delay_alu instid0(VALU_DEP_3) | instskip(SKIP_1) | instid1(VALU_DEP_4)
	v_mul_lo_u16 v0, 0x75, v0
	v_add_co_u32 v5, null, 0x268, v32
	v_and_b32_e32 v7, 0xffff, v3
	s_delay_alu instid0(VALU_DEP_4) | instskip(NEXT) | instid1(VALU_DEP_4)
	v_and_b32_e32 v8, 0xffff, v4
	v_lshrrev_b16 v1, 8, v0
	v_add_nc_u16 v0, v32, 0x9a
	v_and_b32_e32 v10, 0xffff, v5
	s_load_b128 s[4:7], s[4:5], 0x0
	global_wb scope:SCOPE_SE
	s_wait_dscnt 0x0
	v_sub_nc_u16 v2, v32, v1
	v_and_b32_e32 v6, 0xffff, v0
	s_wait_kmcnt 0x0
	s_barrier_signal -1
	s_barrier_wait -1
	global_inv scope:SCOPE_SE
	v_lshrrev_b16 v2, 1, v2
	v_cmp_gt_u16_e64 s0, 0x42, v32
                                        ; implicit-def: $vgpr59
                                        ; implicit-def: $vgpr60
                                        ; implicit-def: $vgpr61
	s_delay_alu instid0(VALU_DEP_2) | instskip(NEXT) | instid1(VALU_DEP_1)
	v_and_b32_e32 v2, 0x7f, v2
	v_add_nc_u16 v2, v2, v1
	v_mul_u32_u24_e32 v1, 0xba2f, v6
	v_mul_u32_u24_e32 v6, 0xba2f, v7
	;; [unrolled: 1-line block ×4, first 2 shown]
	v_lshrrev_b16 v15, 3, v2
	v_lshrrev_b32_e32 v16, 19, v1
	v_lshrrev_b32_e32 v17, 19, v6
	;; [unrolled: 1-line block ×4, first 2 shown]
	v_mul_lo_u16 v2, v15, 11
	v_mul_lo_u16 v6, v16, 11
	;; [unrolled: 1-line block ×5, first 2 shown]
	v_sub_nc_u16 v2, v32, v2
	v_sub_nc_u16 v20, v0, v6
	;; [unrolled: 1-line block ×5, first 2 shown]
	v_and_b32_e32 v24, 0xff, v2
	v_and_b32_e32 v2, 0xffff, v20
	;; [unrolled: 1-line block ×5, first 2 shown]
	v_lshlrev_b32_e32 v6, 2, v24
	v_lshlrev_b32_e32 v2, 2, v2
	;; [unrolled: 1-line block ×5, first 2 shown]
	s_clause 0x4
	global_load_b32 v40, v6, s[2:3]
	global_load_b32 v41, v2, s[2:3]
	;; [unrolled: 1-line block ×5, first 2 shown]
	v_and_b32_e32 v2, 0xffff, v32
	v_mad_u16 v16, v16, 22, v20
	v_and_b32_e32 v15, 0xffff, v15
	v_mad_u16 v17, v17, 22, v21
	v_mad_u16 v18, v18, 22, v22
	v_lshlrev_b32_e32 v33, 2, v2
	v_mad_u16 v19, v19, 22, v23
	v_and_b32_e32 v16, 0xffff, v16
	v_mul_u32_u24_e32 v15, 22, v15
	v_and_b32_e32 v17, 0xffff, v17
	v_add_nc_u32_e32 v2, 0x900, v33
	v_add_nc_u32_e32 v7, 0xe00, v33
	;; [unrolled: 1-line block ×4, first 2 shown]
	ds_load_2addr_b32 v[3:4], v33 offset1:154
	ds_load_2addr_b32 v[5:6], v2 offset0:40 offset1:194
	ds_load_2addr_b32 v[7:8], v7 offset0:28 offset1:182
	;; [unrolled: 1-line block ×4, first 2 shown]
	v_and_b32_e32 v18, 0xffff, v18
	v_and_b32_e32 v19, 0xffff, v19
	v_lshlrev_b32_e32 v42, 2, v16
	v_add_lshl_u32 v46, v15, v24, 2
	v_lshlrev_b32_e32 v43, 2, v17
	v_lshlrev_b32_e32 v44, 2, v18
	;; [unrolled: 1-line block ×3, first 2 shown]
	v_add_nc_u32_e32 v27, 0x680, v33
	v_add_nc_u32_e32 v30, 0xd80, v33
	global_wb scope:SCOPE_SE
	s_wait_loadcnt_dscnt 0x0
	s_barrier_signal -1
	s_barrier_wait -1
	global_inv scope:SCOPE_SE
	v_lshrrev_b32_e32 v20, 16, v6
	v_lshrrev_b32_e32 v21, 16, v7
	;; [unrolled: 1-line block ×15, first 2 shown]
	v_mul_f16_e32 v15, v20, v51
	v_mul_f16_e32 v16, v6, v51
	;; [unrolled: 1-line block ×10, first 2 shown]
	v_fma_f16 v6, v6, v40, -v15
	v_fmac_f16_e32 v16, v20, v40
	v_fma_f16 v7, v7, v41, -v17
	v_fmac_f16_e32 v18, v21, v41
	;; [unrolled: 2-line block ×5, first 2 shown]
	v_sub_f16_e32 v6, v3, v6
	v_sub_f16_e32 v15, v29, v16
	;; [unrolled: 1-line block ×10, first 2 shown]
	v_fma_f16 v3, v3, 2.0, -v6
	v_fma_f16 v13, v29, 2.0, -v15
	;; [unrolled: 1-line block ×10, first 2 shown]
	v_pack_b32_f16 v5, v6, v15
	v_pack_b32_f16 v3, v3, v13
	;; [unrolled: 1-line block ×10, first 2 shown]
	ds_store_2addr_b32 v46, v3, v5 offset1:11
	ds_store_2addr_b32 v42, v4, v6 offset1:11
	;; [unrolled: 1-line block ×5, first 2 shown]
	global_wb scope:SCOPE_SE
	s_wait_dscnt 0x0
	s_barrier_signal -1
	s_barrier_wait -1
	global_inv scope:SCOPE_SE
	ds_load_2addr_b32 v[10:11], v33 offset1:220
	ds_load_2addr_b32 v[21:22], v27 offset0:24 offset1:244
	ds_load_2addr_b32 v[19:20], v30 offset0:16 offset1:236
	ds_load_b32 v27, v33 offset:5280
                                        ; implicit-def: $vgpr24
                                        ; implicit-def: $vgpr30
	s_and_saveexec_b32 s1, s0
	s_cbranch_execz .LBB0_9
; %bb.8:
	v_add_nc_u32_e32 v3, 0x200, v33
	v_add_nc_u32_e32 v4, 0x1000, v33
	ds_load_2addr_b32 v[8:9], v2 offset0:18 offset1:238
	ds_load_2addr_b32 v[17:18], v3 offset0:26 offset1:246
	;; [unrolled: 1-line block ×3, first 2 shown]
	ds_load_b32 v30, v33 offset:5896
	s_wait_dscnt 0x3
	v_lshrrev_b32_e32 v28, 16, v8
	v_lshrrev_b32_e32 v25, 16, v9
	s_wait_dscnt 0x2
	v_lshrrev_b32_e32 v26, 16, v17
	v_lshrrev_b32_e32 v29, 16, v18
	;; [unrolled: 3-line block ×3, first 2 shown]
	s_wait_dscnt 0x0
	v_lshrrev_b32_e32 v60, 16, v30
.LBB0_9:
	s_wait_alu 0xfffe
	s_or_b32 exec_lo, exec_lo, s1
	v_lshrrev_b32_e32 v35, 20, v1
	s_wait_dscnt 0x3
	v_lshrrev_b32_e32 v64, 16, v11
	s_wait_dscnt 0x2
	;; [unrolled: 2-line block ×4, first 2 shown]
	v_lshrrev_b32_e32 v72, 16, v27
	v_mul_lo_u16 v1, v35, 22
	v_lshrrev_b32_e32 v67, 16, v22
	v_lshrrev_b32_e32 v68, 16, v19
	;; [unrolled: 1-line block ×3, first 2 shown]
	s_delay_alu instid0(VALU_DEP_4) | instskip(SKIP_1) | instid1(VALU_DEP_2)
	v_sub_nc_u16 v36, v0, v1
	v_lshrrev_b16 v1, 1, v32
	v_mul_lo_u16 v0, v36, 24
	s_delay_alu instid0(VALU_DEP_2) | instskip(NEXT) | instid1(VALU_DEP_2)
	v_and_b32_e32 v1, 0x7f, v1
	v_and_b32_e32 v0, 0xffff, v0
	s_delay_alu instid0(VALU_DEP_2) | instskip(NEXT) | instid1(VALU_DEP_2)
	v_mul_lo_u16 v6, 0xbb, v1
	v_add_co_u32 v4, s1, s2, v0
	s_wait_alu 0xf1ff
	v_add_co_ci_u32_e64 v5, null, s3, 0, s1
	s_delay_alu instid0(VALU_DEP_3)
	v_lshrrev_b16 v52, 11, v6
	s_clause 0x1
	global_load_b128 v[0:3], v[4:5], off offset:44
	global_load_b64 v[13:14], v[4:5], off offset:60
	v_mul_lo_u16 v4, v52, 22
	v_and_b32_e32 v52, 0xffff, v52
	s_delay_alu instid0(VALU_DEP_2) | instskip(NEXT) | instid1(VALU_DEP_2)
	v_sub_nc_u16 v4, v32, v4
	v_mul_u32_u24_e32 v52, 0x9a, v52
	s_delay_alu instid0(VALU_DEP_2) | instskip(NEXT) | instid1(VALU_DEP_1)
	v_and_b32_e32 v53, 0xff, v4
	v_mad_co_u64_u32 v[15:16], null, v53, 24, s[2:3]
	s_delay_alu instid0(VALU_DEP_3)
	v_add_lshl_u32 v58, v52, v53, 2
	s_clause 0x1
	global_load_b128 v[4:7], v[15:16], off offset:44
	global_load_b64 v[15:16], v[15:16], off offset:60
	global_wb scope:SCOPE_SE
	s_wait_loadcnt 0x0
	s_barrier_signal -1
	s_barrier_wait -1
	global_inv scope:SCOPE_SE
	v_lshrrev_b32_e32 v56, 16, v0
	v_lshrrev_b32_e32 v54, 16, v1
	;; [unrolled: 1-line block ×6, first 2 shown]
	v_mul_f16_e32 v62, v29, v56
	v_mul_f16_e32 v74, v18, v56
	;; [unrolled: 1-line block ×12, first 2 shown]
	v_fma_f16 v18, v18, v0, -v62
	v_fmac_f16_e32 v74, v29, v0
	v_fma_f16 v8, v8, v1, -v65
	v_fmac_f16_e32 v75, v28, v1
	;; [unrolled: 2-line block ×6, first 2 shown]
	v_lshrrev_b32_e32 v73, 16, v4
	v_lshrrev_b32_e32 v70, 16, v5
	;; [unrolled: 1-line block ×6, first 2 shown]
	v_add_f16_e32 v28, v18, v25
	v_add_f16_e32 v29, v74, v80
	v_sub_f16_e32 v18, v18, v25
	v_sub_f16_e32 v25, v74, v80
	v_add_f16_e32 v30, v8, v24
	v_add_f16_e32 v59, v75, v78
	v_sub_f16_e32 v8, v8, v24
	v_sub_f16_e32 v24, v75, v78
	;; [unrolled: 4-line block ×3, first 2 shown]
	v_mul_f16_e32 v75, v64, v73
	v_mul_f16_e32 v76, v11, v73
	v_mul_f16_e32 v77, v66, v70
	v_mul_f16_e32 v78, v21, v70
	v_mul_f16_e32 v83, v71, v61
	v_mul_f16_e32 v84, v20, v61
	v_mul_f16_e32 v85, v72, v65
	v_mul_f16_e32 v86, v27, v65
	v_mul_f16_e32 v79, v67, v69
	v_mul_f16_e32 v80, v22, v69
	v_mul_f16_e32 v81, v68, v62
	v_mul_f16_e32 v82, v19, v62
	v_add_f16_e32 v87, v30, v28
	v_add_f16_e32 v88, v59, v29
	v_sub_f16_e32 v89, v30, v28
	v_sub_f16_e32 v90, v59, v29
	;; [unrolled: 1-line block ×5, first 2 shown]
	v_add_f16_e32 v91, v9, v8
	v_add_f16_e32 v92, v23, v24
	v_sub_f16_e32 v93, v9, v8
	v_sub_f16_e32 v94, v23, v24
	;; [unrolled: 1-line block ×5, first 2 shown]
	v_fma_f16 v8, v11, v4, -v75
	v_fmac_f16_e32 v76, v64, v4
	v_fma_f16 v9, v21, v5, -v77
	v_fmac_f16_e32 v78, v66, v5
	;; [unrolled: 2-line block ×4, first 2 shown]
	v_sub_f16_e32 v30, v60, v30
	v_sub_f16_e32 v23, v25, v23
	v_fma_f16 v11, v22, v6, -v79
	v_fmac_f16_e32 v80, v67, v6
	v_fma_f16 v19, v19, v7, -v81
	v_fmac_f16_e32 v82, v68, v7
	v_add_f16_e32 v27, v60, v87
	v_add_f16_e32 v60, v74, v88
	v_mul_f16_e32 v22, 0x3a52, v28
	v_mul_f16_e32 v28, 0x3a52, v29
	;; [unrolled: 1-line block ×6, first 2 shown]
	v_add_f16_e32 v72, v8, v21
	v_add_f16_e32 v74, v76, v86
	;; [unrolled: 1-line block ×4, first 2 shown]
	v_mul_f16_e32 v29, 0x2b26, v30
	v_mul_f16_e32 v68, 0x3b00, v96
	v_sub_f16_e32 v75, v8, v21
	v_sub_f16_e32 v81, v9, v20
	;; [unrolled: 1-line block ×3, first 2 shown]
	v_add_f16_e32 v83, v11, v19
	v_add_f16_e32 v84, v80, v82
	v_sub_f16_e32 v19, v19, v11
	v_sub_f16_e32 v80, v82, v80
	v_add_f16_e32 v8, v17, v27
	v_add_f16_e32 v9, v26, v60
	v_fmamk_f16 v17, v30, 0x2b26, v22
	v_fmamk_f16 v26, v59, 0x2b26, v28
	v_fma_f16 v30, v90, 0x39e0, -v64
	v_fma_f16 v59, v89, 0xb9e0, -v22
	v_fmamk_f16 v11, v95, 0x3574, v66
	v_fmamk_f16 v20, v23, 0x3574, v67
	v_fma_f16 v64, v96, 0x3b00, -v66
	v_fma_f16 v66, v24, 0x3b00, -v67
	v_fma_f16 v22, v23, 0xb574, -v71
	v_add_f16_e32 v23, v77, v72
	v_add_f16_e32 v24, v79, v74
	v_sub_f16_e32 v76, v76, v86
	v_add_f16_e32 v18, v91, v18
	v_add_f16_e32 v25, v92, v25
	v_fma_f16 v29, v89, 0x39e0, -v29
	v_fma_f16 v21, v95, 0xb574, -v68
	v_sub_f16_e32 v67, v77, v72
	v_sub_f16_e32 v68, v79, v74
	;; [unrolled: 1-line block ×6, first 2 shown]
	v_add_f16_e32 v79, v19, v81
	v_add_f16_e32 v82, v80, v78
	v_sub_f16_e32 v85, v19, v81
	v_sub_f16_e32 v86, v80, v78
	;; [unrolled: 1-line block ×3, first 2 shown]
	v_fmamk_f16 v27, v27, 0xbcab, v8
	v_fmamk_f16 v60, v60, 0xbcab, v9
	v_add_f16_e32 v87, v83, v23
	v_add_f16_e32 v84, v84, v24
	v_sub_f16_e32 v78, v78, v76
	v_fma_f16 v28, v90, 0xb9e0, -v28
	v_sub_f16_e32 v19, v75, v19
	v_sub_f16_e32 v80, v76, v80
	v_fmac_f16_e32 v11, 0x370e, v18
	v_fmac_f16_e32 v20, 0x370e, v25
	;; [unrolled: 1-line block ×6, first 2 shown]
	v_add_f16_e32 v75, v79, v75
	v_add_f16_e32 v76, v82, v76
	v_mul_f16_e32 v18, 0x3a52, v71
	v_mul_f16_e32 v71, 0x3a52, v72
	;; [unrolled: 1-line block ×7, first 2 shown]
	v_add_f16_e32 v23, v17, v27
	v_add_f16_e32 v17, v29, v27
	v_add_f16_e32 v29, v30, v60
	v_add_f16_e32 v25, v59, v27
	v_add_f16_e32 v10, v10, v87
	v_add_f16_e32 v27, v63, v84
	v_mul_f16_e32 v86, 0x3b00, v78
	v_add_f16_e32 v24, v26, v60
	v_add_f16_e32 v26, v28, v60
	v_fmamk_f16 v28, v74, 0x2b26, v18
	v_fmamk_f16 v30, v77, 0x2b26, v71
	v_fma_f16 v59, v67, 0x39e0, -v72
	v_fma_f16 v60, v68, 0x39e0, -v79
	v_fmamk_f16 v72, v19, 0x3574, v82
	v_fmamk_f16 v74, v80, 0x3574, v83
	v_fma_f16 v78, v78, 0x3b00, -v83
	v_fma_f16 v79, v19, 0xb574, -v85
	v_sub_f16_e32 v19, v17, v66
	v_add_f16_e32 v83, v64, v29
	v_add_f16_e32 v17, v66, v17
	v_sub_f16_e32 v64, v29, v64
	v_fmamk_f16 v29, v87, 0xbcab, v10
	v_fmamk_f16 v66, v84, 0xbcab, v27
	v_fma_f16 v63, v67, 0xb9e0, -v18
	v_fma_f16 v67, v68, 0xb9e0, -v71
	;; [unrolled: 1-line block ×4, first 2 shown]
	v_fmac_f16_e32 v72, 0x370e, v75
	v_fmac_f16_e32 v74, 0x370e, v76
	v_pack_b32_f16 v10, v10, v27
	v_add_f16_e32 v27, v28, v29
	v_add_f16_e32 v28, v30, v66
	v_fmac_f16_e32 v77, 0x370e, v75
	v_fmac_f16_e32 v78, 0x370e, v76
	;; [unrolled: 1-line block ×4, first 2 shown]
	v_add_f16_e32 v30, v59, v29
	v_add_f16_e32 v29, v63, v29
	;; [unrolled: 1-line block ×5, first 2 shown]
	v_sub_f16_e32 v66, v28, v72
	v_add_f16_e32 v67, v80, v29
	v_sub_f16_e32 v75, v59, v79
	v_sub_f16_e32 v76, v30, v78
	v_add_f16_e32 v81, v77, v60
	v_add_f16_e32 v30, v78, v30
	v_sub_f16_e32 v60, v60, v77
	v_sub_f16_e32 v29, v29, v80
	v_add_f16_e32 v59, v79, v59
	v_sub_f16_e32 v27, v27, v74
	v_add_f16_e32 v28, v72, v28
	;; [unrolled: 2-line block ×3, first 2 shown]
	v_sub_f16_e32 v71, v23, v20
	v_pack_b32_f16 v63, v63, v66
	v_add_f16_e32 v78, v11, v24
	v_pack_b32_f16 v66, v67, v75
	v_pack_b32_f16 v67, v76, v81
	;; [unrolled: 1-line block ×5, first 2 shown]
	ds_store_2addr_b32 v58, v10, v63 offset1:22
	ds_store_2addr_b32 v58, v66, v67 offset0:44 offset1:66
	ds_store_2addr_b32 v58, v30, v29 offset0:88 offset1:110
	ds_store_b32 v58, v27 offset:528
	s_and_saveexec_b32 s1, s0
	s_cbranch_execz .LBB0_11
; %bb.10:
	v_mad_u16 v10, 0x9a, v35, v36
	v_sub_f16_e32 v11, v24, v11
	v_add_f16_e32 v20, v20, v23
	v_sub_f16_e32 v21, v26, v21
	v_add_f16_e32 v22, v22, v25
	v_and_b32_e32 v10, 0xffff, v10
	v_perm_b32 v8, v9, v8, 0x5040100
	v_pack_b32_f16 v11, v20, v11
	v_perm_b32 v9, v83, v19, 0x5040100
	v_pack_b32_f16 v20, v22, v21
	v_lshlrev_b32_e32 v10, 2, v10
	v_perm_b32 v23, v64, v17, 0x5040100
	v_perm_b32 v21, v68, v18, 0x5040100
	;; [unrolled: 1-line block ×3, first 2 shown]
	ds_store_2addr_b32 v10, v8, v11 offset1:22
	ds_store_2addr_b32 v10, v20, v9 offset0:44 offset1:66
	ds_store_2addr_b32 v10, v23, v21 offset0:88 offset1:110
	ds_store_b32 v10, v22 offset:528
.LBB0_11:
	s_wait_alu 0xfffe
	s_or_b32 exec_lo, exec_lo, s1
	v_lshlrev_b32_e32 v59, 4, v32
	global_wb scope:SCOPE_SE
	s_wait_dscnt 0x0
	s_barrier_signal -1
	s_barrier_wait -1
	global_inv scope:SCOPE_SE
	global_load_b128 v[8:11], v59, s[2:3] offset:572
	v_add_nc_u32_e32 v20, 0x400, v33
	v_add_nc_u32_e32 v84, 0x900, v33
	;; [unrolled: 1-line block ×4, first 2 shown]
	ds_load_2addr_b32 v[21:22], v33 offset1:154
	ds_load_2addr_b32 v[23:24], v20 offset0:52 offset1:206
	ds_load_2addr_b32 v[25:26], v84 offset0:40 offset1:194
	;; [unrolled: 1-line block ×4, first 2 shown]
	v_mul_i32_i24_e32 v63, -12, v32
	v_add_co_u32 v59, s1, s2, v59
	v_mul_hi_i32_i24_e32 v60, -12, v32
	s_wait_alu 0xf1ff
	v_add_co_ci_u32_e64 v66, null, s3, 0, s1
	s_delay_alu instid0(VALU_DEP_3)
	v_add_co_u32 v74, s1, v59, v63
	global_wb scope:SCOPE_SE
	s_wait_loadcnt_dscnt 0x0
	s_wait_alu 0xf1ff
	v_add_co_ci_u32_e64 v75, s1, v66, v60, s1
	s_barrier_signal -1
	s_barrier_wait -1
	global_inv scope:SCOPE_SE
	v_lshrrev_b32_e32 v63, 16, v23
	v_lshrrev_b32_e32 v66, 16, v25
	v_lshrrev_b32_e32 v67, 16, v27
	v_lshrrev_b32_e32 v72, 16, v29
	v_lshrrev_b32_e32 v76, 16, v24
	v_lshrrev_b32_e32 v77, 16, v26
	v_lshrrev_b32_e32 v85, 16, v28
	v_lshrrev_b32_e32 v86, 16, v30
	v_lshrrev_b32_e32 v59, 16, v21
	v_lshrrev_b32_e32 v60, 16, v22
	v_lshrrev_b32_e32 v82, 16, v8
	v_lshrrev_b32_e32 v81, 16, v9
	v_lshrrev_b32_e32 v80, 16, v10
	v_lshrrev_b32_e32 v79, 16, v11
	s_delay_alu instid0(VALU_DEP_4)
	v_mul_f16_e32 v87, v63, v82
	v_mul_f16_e32 v88, v23, v82
	;; [unrolled: 1-line block ×16, first 2 shown]
	v_fma_f16 v23, v23, v8, -v87
	v_fmac_f16_e32 v88, v63, v8
	v_fma_f16 v25, v25, v9, -v89
	v_fmac_f16_e32 v90, v66, v9
	;; [unrolled: 2-line block ×8, first 2 shown]
	v_add_f16_e32 v63, v21, v23
	v_add_f16_e32 v66, v25, v27
	v_sub_f16_e32 v76, v23, v25
	v_sub_f16_e32 v77, v29, v27
	v_add_f16_e32 v85, v23, v29
	v_add_f16_e32 v89, v59, v88
	;; [unrolled: 1-line block ×4, first 2 shown]
	v_sub_f16_e32 v67, v88, v94
	v_sub_f16_e32 v86, v25, v23
	;; [unrolled: 1-line block ×7, first 2 shown]
	v_add_f16_e32 v105, v22, v24
	v_add_f16_e32 v106, v26, v28
	;; [unrolled: 1-line block ×6, first 2 shown]
	v_sub_f16_e32 v23, v23, v29
	v_sub_f16_e32 v93, v25, v27
	v_add_f16_e32 v25, v63, v25
	v_fma_f16 v63, -0.5, v66, v21
	v_add_f16_e32 v66, v76, v77
	v_fma_f16 v21, -0.5, v85, v21
	;; [unrolled: 2-line block ×3, first 2 shown]
	v_sub_f16_e32 v72, v90, v92
	v_fmac_f16_e32 v59, -0.5, v101
	v_sub_f16_e32 v107, v98, v104
	v_sub_f16_e32 v108, v100, v102
	;; [unrolled: 1-line block ×6, first 2 shown]
	v_add_f16_e32 v76, v86, v87
	v_add_f16_e32 v86, v97, v99
	;; [unrolled: 1-line block ×4, first 2 shown]
	v_fma_f16 v88, -0.5, v106, v22
	v_fmac_f16_e32 v22, -0.5, v111
	v_add_f16_e32 v91, v114, v100
	v_fma_f16 v97, -0.5, v115, v60
	v_fmac_f16_e32 v60, -0.5, v119
	v_add_f16_e32 v25, v25, v27
	v_fmamk_f16 v27, v67, 0x3b9c, v63
	v_add_f16_e32 v77, v77, v92
	v_fmamk_f16 v92, v23, 0xbb9c, v85
	v_sub_f16_e32 v117, v98, v100
	v_sub_f16_e32 v98, v100, v98
	v_fmamk_f16 v100, v72, 0xbb9c, v21
	v_fmac_f16_e32 v21, 0x3b9c, v72
	v_fmamk_f16 v101, v93, 0x3b9c, v59
	v_fmac_f16_e32 v59, 0xbb9c, v93
	v_fmac_f16_e32 v63, 0xbb9c, v67
	;; [unrolled: 1-line block ×3, first 2 shown]
	v_sub_f16_e32 v110, v30, v28
	v_sub_f16_e32 v113, v28, v30
	;; [unrolled: 1-line block ×4, first 2 shown]
	v_add_f16_e32 v26, v26, v28
	v_fmamk_f16 v28, v107, 0x3b9c, v88
	v_fmamk_f16 v103, v108, 0xbb9c, v22
	v_add_f16_e32 v91, v91, v102
	v_fmamk_f16 v102, v24, 0xbb9c, v97
	v_fmamk_f16 v105, v116, 0x3b9c, v60
	v_fmac_f16_e32 v88, 0xbb9c, v107
	v_fmac_f16_e32 v22, 0x3b9c, v108
	v_fmac_f16_e32 v97, 0x3b9c, v24
	v_fmac_f16_e32 v60, 0xbb9c, v116
	v_fmac_f16_e32 v27, 0x38b4, v72
	v_fmac_f16_e32 v92, 0xb8b4, v93
	v_fmac_f16_e32 v100, 0x38b4, v67
	v_fmac_f16_e32 v21, 0xb8b4, v67
	v_fmac_f16_e32 v101, 0xb8b4, v23
	v_fmac_f16_e32 v59, 0x38b4, v23
	v_fmac_f16_e32 v63, 0xb8b4, v72
	v_fmac_f16_e32 v85, 0x38b4, v93
	v_add_f16_e32 v89, v109, v110
	v_add_f16_e32 v90, v112, v113
	;; [unrolled: 1-line block ×4, first 2 shown]
	v_fmac_f16_e32 v28, 0x38b4, v108
	v_fmac_f16_e32 v103, 0x38b4, v107
	;; [unrolled: 1-line block ×8, first 2 shown]
	v_add_f16_e32 v25, v25, v29
	v_add_f16_e32 v29, v77, v94
	v_fmac_f16_e32 v27, 0x34f2, v66
	v_fmac_f16_e32 v92, 0x34f2, v86
	v_add_f16_e32 v23, v26, v30
	v_add_f16_e32 v26, v91, v104
	v_fmac_f16_e32 v100, 0x34f2, v76
	v_fmac_f16_e32 v21, 0x34f2, v76
	;; [unrolled: 1-line block ×14, first 2 shown]
	v_pack_b32_f16 v24, v25, v29
	v_pack_b32_f16 v25, v27, v92
	;; [unrolled: 1-line block ×10, first 2 shown]
	ds_store_2addr_b32 v33, v24, v25 offset1:154
	ds_store_2addr_b32 v20, v26, v21 offset0:52 offset1:206
	ds_store_2addr_b32 v84, v27, v23 offset0:40 offset1:194
	ds_store_2addr_b32 v95, v28, v29 offset0:28 offset1:182
	ds_store_2addr_b32 v96, v22, v30 offset0:80 offset1:234
	global_wb scope:SCOPE_SE
	s_wait_dscnt 0x0
	s_barrier_signal -1
	s_barrier_wait -1
	global_inv scope:SCOPE_SE
	s_clause 0x4
	global_load_b32 v59, v[74:75], off offset:3036
	global_load_b32 v66, v[74:75], off offset:3652
	;; [unrolled: 1-line block ×5, first 2 shown]
	ds_load_2addr_b32 v[92:93], v33 offset1:154
	ds_load_2addr_b32 v[23:24], v84 offset0:40 offset1:194
	ds_load_2addr_b32 v[21:22], v95 offset0:28 offset1:182
	;; [unrolled: 1-line block ×4, first 2 shown]
	s_wait_dscnt 0x4
	v_lshrrev_b32_e32 v27, 16, v92
	s_wait_dscnt 0x3
	v_lshrrev_b32_e32 v28, 16, v24
	;; [unrolled: 2-line block ×3, first 2 shown]
	v_lshrrev_b32_e32 v85, 16, v22
	s_wait_dscnt 0x0
	v_lshrrev_b32_e32 v86, 16, v25
	v_lshrrev_b32_e32 v87, 16, v26
	;; [unrolled: 1-line block ×6, first 2 shown]
	s_wait_loadcnt 0x4
	v_lshrrev_b32_e32 v77, 16, v59
	s_wait_loadcnt 0x3
	v_lshrrev_b32_e32 v76, 16, v66
	;; [unrolled: 2-line block ×5, first 2 shown]
	v_mul_f16_e32 v88, v28, v77
	v_mul_f16_e32 v90, v24, v77
	;; [unrolled: 1-line block ×10, first 2 shown]
	v_fma_f16 v24, v24, v59, -v88
	v_fmac_f16_e32 v90, v28, v59
	v_fma_f16 v21, v21, v66, -v94
	v_fmac_f16_e32 v100, v30, v66
	;; [unrolled: 2-line block ×5, first 2 shown]
	v_sub_f16_e32 v22, v92, v24
	v_sub_f16_e32 v90, v27, v90
	v_sub_f16_e32 v28, v93, v21
	v_sub_f16_e32 v88, v29, v100
	v_sub_f16_e32 v30, v97, v30
	v_sub_f16_e32 v87, v89, v102
	v_sub_f16_e32 v26, v98, v25
	v_sub_f16_e32 v86, v91, v104
	v_sub_f16_e32 v24, v23, v85
	v_sub_f16_e32 v85, v99, v106
	v_fma_f16 v21, v92, 2.0, -v22
	v_fma_f16 v92, v27, 2.0, -v90
	;; [unrolled: 1-line block ×10, first 2 shown]
	v_pack_b32_f16 v98, v28, v88
	v_pack_b32_f16 v99, v30, v87
	;; [unrolled: 1-line block ×10, first 2 shown]
	ds_store_2addr_b32 v95, v98, v99 offset0:28 offset1:182
	ds_store_2addr_b32 v96, v100, v101 offset0:80 offset1:234
	ds_store_2addr_b32 v33, v102, v103 offset1:154
	ds_store_2addr_b32 v20, v104, v105 offset0:52 offset1:206
	ds_store_2addr_b32 v84, v106, v97 offset0:40 offset1:194
	global_wb scope:SCOPE_SE
	s_wait_dscnt 0x0
	s_barrier_signal -1
	s_barrier_wait -1
	global_inv scope:SCOPE_SE
	s_and_saveexec_b32 s1, vcc_lo
	s_cbranch_execz .LBB0_13
; %bb.12:
	global_load_b32 v20, v31, s[14:15] offset:6160
	s_add_nc_u64 s[2:3], s[14:15], 0x1810
	s_clause 0x9
	global_load_b32 v84, v31, s[2:3] offset:560
	global_load_b32 v105, v31, s[2:3] offset:1120
	;; [unrolled: 1-line block ×10, first 2 shown]
	ds_load_b32 v95, v33
	v_add_nc_u32_e32 v114, 0x200, v31
	v_add_nc_u32_e32 v115, 0x600, v31
	;; [unrolled: 1-line block ×4, first 2 shown]
	s_wait_dscnt 0x0
	v_lshrrev_b32_e32 v96, 16, v95
	s_wait_loadcnt 0x9
	v_lshrrev_b32_e32 v118, 16, v84
	s_wait_loadcnt 0x8
	;; [unrolled: 2-line block ×6, first 2 shown]
	v_lshrrev_b32_e32 v123, 16, v109
	v_lshrrev_b32_e32 v97, 16, v20
	s_wait_loadcnt 0x3
	v_lshrrev_b32_e32 v124, 16, v110
	s_wait_loadcnt 0x2
	v_lshrrev_b32_e32 v125, 16, v111
	s_wait_loadcnt 0x1
	v_lshrrev_b32_e32 v126, 16, v112
	s_wait_loadcnt 0x0
	v_lshrrev_b32_e32 v127, 16, v113
	v_mul_f16_e32 v98, v96, v97
	v_mul_f16_e32 v97, v95, v97
	s_delay_alu instid0(VALU_DEP_2) | instskip(NEXT) | instid1(VALU_DEP_2)
	v_fma_f16 v95, v95, v20, -v98
	v_fmac_f16_e32 v97, v96, v20
	s_delay_alu instid0(VALU_DEP_1)
	v_pack_b32_f16 v20, v95, v97
	ds_store_b32 v33, v20
	v_add_nc_u32_e32 v20, 0xa00, v31
	ds_load_2addr_b32 v[95:96], v114 offset0:12 offset1:152
	ds_load_2addr_b32 v[97:98], v115 offset0:36 offset1:176
	;; [unrolled: 1-line block ×5, first 2 shown]
	s_wait_dscnt 0x4
	v_lshrrev_b32_e32 v128, 16, v95
	v_lshrrev_b32_e32 v130, 16, v96
	s_wait_dscnt 0x3
	v_lshrrev_b32_e32 v132, 16, v97
	v_lshrrev_b32_e32 v134, 16, v98
	;; [unrolled: 3-line block ×3, first 2 shown]
	v_lshrrev_b32_e32 v140, 16, v101
	v_lshrrev_b32_e32 v142, 16, v102
	;; [unrolled: 1-line block ×4, first 2 shown]
	v_mul_f16_e64 v129, v95, v118
	v_mul_f16_e64 v131, v96, v119
	;; [unrolled: 1-line block ×20, first 2 shown]
	v_fmac_f16_e64 v129, v128, v84
	v_fmac_f16_e64 v131, v130, v105
	v_fma_f16 v84, v95, v84, -v118
	v_fma_f16 v95, v96, v105, -v119
	v_fmac_f16_e64 v133, v132, v106
	v_fmac_f16_e64 v135, v134, v107
	v_fma_f16 v96, v97, v106, -v120
	v_fma_f16 v97, v98, v107, -v121
	;; [unrolled: 4-line block ×5, first 2 shown]
	v_pack_b32_f16 v84, v84, v129
	v_pack_b32_f16 v95, v95, v131
	;; [unrolled: 1-line block ×10, first 2 shown]
	ds_store_2addr_b32 v114, v84, v95 offset0:12 offset1:152
	ds_store_2addr_b32 v115, v96, v97 offset0:36 offset1:176
	;; [unrolled: 1-line block ×5, first 2 shown]
.LBB0_13:
	s_wait_alu 0xfffe
	s_or_b32 exec_lo, exec_lo, s1
	global_wb scope:SCOPE_SE
	s_wait_dscnt 0x0
	s_barrier_signal -1
	s_barrier_wait -1
	global_inv scope:SCOPE_SE
	s_and_saveexec_b32 s1, vcc_lo
	s_cbranch_execz .LBB0_15
; %bb.14:
	v_add_nc_u32_e32 v19, 0x400, v33
	v_add_nc_u32_e32 v20, 0x800, v33
	;; [unrolled: 1-line block ×3, first 2 shown]
	ds_load_2addr_b32 v[21:22], v33 offset1:140
	ds_load_2addr_b32 v[27:28], v19 offset0:24 offset1:164
	v_add_nc_u32_e32 v19, 0x1000, v33
	ds_load_2addr_b32 v[29:30], v20 offset0:48 offset1:188
	ds_load_2addr_b32 v[25:26], v23 offset0:72 offset1:212
	;; [unrolled: 1-line block ×3, first 2 shown]
	ds_load_b32 v19, v33 offset:5600
	s_wait_dscnt 0x5
	v_lshrrev_b32_e32 v92, 16, v21
	v_lshrrev_b32_e32 v90, 16, v22
	s_wait_dscnt 0x4
	v_lshrrev_b32_e32 v94, 16, v27
	v_lshrrev_b32_e32 v88, 16, v28
	;; [unrolled: 3-line block ×5, first 2 shown]
	s_wait_dscnt 0x0
	v_lshrrev_b32_e32 v83, 16, v19
.LBB0_15:
	s_wait_alu 0xfffe
	s_or_b32 exec_lo, exec_lo, s1
	s_delay_alu instid0(VALU_DEP_1)
	v_sub_f16_e32 v115, v90, v83
	v_add_f16_e32 v110, v83, v90
	v_add_f16_e32 v107, v19, v22
	v_sub_f16_e32 v120, v22, v19
	v_sub_f16_e32 v116, v94, v85
	v_mul_f16_e32 v95, 0xb853, v115
	v_mul_f16_e32 v96, 0x3abb, v110
	v_add_f16_e32 v112, v85, v94
	v_add_f16_e32 v109, v24, v27
	v_mul_f16_e32 v97, 0xbb47, v116
	v_fma_f16 v20, v107, 0x3abb, -v95
	v_fmamk_f16 v84, v120, 0xb853, v96
	v_sub_f16_e32 v121, v27, v24
	v_mul_f16_e32 v98, 0x36a6, v112
	v_sub_f16_e32 v117, v88, v89
	v_add_f16_e32 v20, v21, v20
	v_add_f16_e32 v84, v92, v84
	v_fma_f16 v101, v109, 0x36a6, -v97
	v_add_f16_e32 v113, v89, v88
	v_fmamk_f16 v102, v121, 0xbb47, v98
	v_add_f16_e32 v111, v23, v28
	v_mul_f16_e32 v99, 0xbbeb, v117
	v_sub_f16_e32 v122, v28, v23
	v_mul_f16_e32 v100, 0xb08e, v113
	v_add_f16_e32 v20, v101, v20
	v_add_f16_e32 v84, v102, v84
	v_sub_f16_e32 v118, v93, v86
	v_fma_f16 v102, v111, 0xb08e, -v99
	v_add_f16_e32 v114, v86, v93
	v_fmamk_f16 v103, v122, 0xbbeb, v100
	v_add_f16_e32 v106, v26, v29
	v_mul_f16_e32 v101, 0xba0c, v118
	v_add_f16_e32 v20, v102, v20
	v_sub_f16_e32 v124, v29, v26
	v_mul_f16_e32 v102, 0xb93d, v114
	v_sub_f16_e32 v119, v87, v91
	v_add_f16_e32 v108, v91, v87
	v_add_f16_e32 v84, v103, v84
	v_fma_f16 v125, v106, 0xb93d, -v101
	v_fmamk_f16 v126, v124, 0xba0c, v102
	v_add_f16_e32 v103, v25, v30
	v_sub_f16_e32 v123, v30, v25
	v_mul_f16_e32 v104, 0xb482, v119
	v_mul_f16_e32 v105, 0xbbad, v108
	v_add_f16_e32 v20, v125, v20
	v_add_f16_e32 v84, v126, v84
	global_wb scope:SCOPE_SE
	v_fma_f16 v125, v103, 0xbbad, -v104
	v_fmamk_f16 v126, v123, 0xb482, v105
	s_barrier_signal -1
	s_barrier_wait -1
	global_inv scope:SCOPE_SE
	v_add_f16_e32 v20, v125, v20
	v_add_f16_e32 v84, v126, v84
	s_and_saveexec_b32 s1, vcc_lo
	s_cbranch_execz .LBB0_17
; %bb.16:
	v_mul_f16_e32 v125, 0xbb47, v120
	v_mul_f16_e64 v129, 0xba0c, v121
	v_mul_f16_e64 v139, 0xbb47, v115
	;; [unrolled: 1-line block ×4, first 2 shown]
	v_fma_f16 v130, 0x36a6, v110, v125
	v_fma_f16 v134, 0xb93d, v112, v129
	v_fma_f16 v142, v107, 0x36a6, -v139
	v_mul_f16_e64 v137, 0x3beb, v124
	v_fma_f16 v138, 0xbbad, v113, v133
	v_add_f16_e64 v130, v92, v130
	v_fma_f16 v145, v109, 0xb93d, -v143
	v_add_f16_e64 v142, v21, v142
	v_mul_f16_e64 v146, 0x3482, v117
	v_fma_f16 v141, 0xb08e, v114, v137
	v_add_f16_e64 v130, v134, v130
	v_mul_f16_e64 v150, 0x3beb, v118
	v_add_f16_e64 v142, v145, v142
	v_fma_f16 v145, v111, 0xbbad, -v146
	v_mul_f16_e64 v144, 0x3853, v123
	v_add_f16_e64 v130, v138, v130
	v_mul_f16_e64 v153, 0x3853, v119
	v_mul_f16_e64 v156, 0xba0c, v120
	v_add_f16_e64 v142, v145, v142
	v_fma_f16 v145, v106, 0xb08e, -v150
	v_add_f16_e64 v130, v141, v130
	v_mul_f16_e64 v141, 0xbbeb, v120
	v_fma_f16 v147, 0x3abb, v108, v144
	v_mul_f16_e64 v149, 0x3482, v121
	v_add_f16_e64 v142, v145, v142
	v_fma_f16 v145, v103, 0x3abb, -v153
	v_fma_f16 v148, 0xb08e, v110, v141
	v_mul_f16_e64 v155, 0xbbeb, v115
	v_fma_f16 v160, 0xb93d, v110, v156
	v_mul_f16_e64 v161, 0x3beb, v121
	v_fma_f16 v151, 0xbbad, v112, v149
	v_add_f16_e64 v148, v92, v148
	v_mul_f16_e64 v152, 0x3b47, v122
	v_add_f16_e64 v130, v147, v130
	v_add_f16_e64 v142, v145, v142
	v_fma_f16 v145, v107, 0xb08e, -v155
	v_mul_f16_e64 v147, 0x3482, v116
	v_add_f16_e64 v160, v92, v160
	v_fma_f16 v163, 0xb08e, v112, v161
	v_mul_f16_e64 v164, 0xb853, v122
	v_add_f16_e64 v148, v151, v148
	v_fma_f16 v151, 0x36a6, v113, v152
	v_mul_f16_e64 v154, 0xb853, v124
	v_add_f16_e64 v145, v21, v145
	v_fma_f16 v157, v109, 0xbbad, -v147
	v_mul_f16_e64 v158, 0x3b47, v117
	v_add_f16_e64 v160, v163, v160
	v_fma_f16 v163, 0x3abb, v113, v164
	v_mul_f16_e64 v166, 0xb482, v124
	v_mul_f16_e32 v127, 0xb853, v120
	v_add_f16_e64 v148, v151, v148
	v_fma_f16 v151, 0x3abb, v114, v154
	v_add_f16_e64 v145, v157, v145
	v_fma_f16 v157, v111, 0x36a6, -v158
	v_mul_f16_e64 v162, 0xb853, v118
	v_add_f16_e64 v160, v163, v160
	v_fma_f16 v163, 0xbbad, v114, v166
	v_mul_f16_e32 v120, 0xb482, v120
	v_mul_f16_e64 v131, 0xbb47, v121
	v_add_f16_e64 v148, v151, v148
	v_mul_f16_e64 v151, 0xba0c, v123
	v_add_f16_e64 v145, v157, v145
	v_fma_f16 v157, v106, 0x3abb, -v162
	v_mul_f16_e64 v165, 0xba0c, v119
	v_add_f16_e64 v160, v163, v160
	v_mul_f16_e64 v163, 0x3b47, v123
	v_fma_f16 v171, 0xbbad, v110, v120
	v_mul_f16_e32 v121, 0x3853, v121
	v_mul_f16_e64 v135, 0xbbeb, v122
	v_fma_f16 v159, 0xb93d, v108, v151
	v_add_f16_e64 v145, v157, v145
	v_fma_f16 v157, v103, 0xb93d, -v165
	v_mul_f16_e64 v167, 0xba0c, v115
	v_fma_f16 v170, 0x36a6, v108, v163
	v_add_f16_e64 v171, v92, v171
	v_fma_f16 v173, 0x3abb, v112, v121
	v_mul_f16_e32 v122, 0xba0c, v122
	v_mul_f16_e64 v134, 0xba0c, v124
	v_add_f16_e64 v148, v159, v148
	v_add_f16_e64 v145, v157, v145
	v_fma_f16 v157, v107, 0xb93d, -v167
	v_mul_f16_e64 v159, 0x3beb, v116
	v_add_f16_e64 v160, v170, v160
	v_add_f16_e64 v170, v173, v171
	v_fma_f16 v171, 0xb93d, v113, v122
	v_mul_f16_e32 v124, 0x3b47, v124
	v_mul_f16_e32 v115, 0xb482, v115
	v_add_f16_e64 v157, v21, v157
	v_fma_f16 v168, v109, 0xb08e, -v159
	v_mul_f16_e64 v169, 0xb853, v117
	v_add_f16_e64 v170, v171, v170
	v_fma_f16 v171, 0x36a6, v114, v124
	v_fma_f16 v173, v107, 0xbbad, -v115
	v_mul_f16_e32 v116, 0x3853, v116
	v_add_f16_e64 v157, v168, v157
	v_fma_f16 v168, v111, 0x3abb, -v169
	v_mul_f16_e64 v172, 0xb482, v118
	v_add_f16_e64 v170, v171, v170
	v_add_f16_e64 v171, v21, v173
	v_fma_f16 v173, v109, 0x3abb, -v116
	v_mul_f16_e32 v117, 0xba0c, v117
	v_fmac_f16_e32 v115, 0xbbad, v107
	v_add_f16_e64 v157, v168, v157
	v_fma_f16 v168, v106, 0xbbad, -v172
	v_fma_f16 v120, v110, 0xbbad, -v120
	v_add_f16_e64 v171, v173, v171
	v_fma_f16 v173, v111, 0xb93d, -v117
	v_mul_f16_e32 v118, 0x3b47, v118
	v_add_f16_e32 v115, v21, v115
	v_fmac_f16_e32 v116, 0x3abb, v109
	v_add_f16_e64 v157, v168, v157
	v_mul_f16_e64 v168, 0x3b47, v119
	v_add_f16_e32 v120, v92, v120
	v_fma_f16 v121, v112, 0x3abb, -v121
	v_add_f16_e64 v171, v173, v171
	v_fma_f16 v173, v106, 0x36a6, -v118
	v_mul_f16_e32 v119, 0xbbeb, v119
	v_add_f16_e32 v115, v116, v115
	v_fmac_f16_e32 v117, 0xb93d, v111
	v_add_f16_e32 v120, v121, v120
	v_fma_f16 v121, v113, 0xb93d, -v122
	v_add_f16_e64 v122, v173, v171
	v_fma_f16 v171, v103, 0xb08e, -v119
	v_add_f16_e32 v115, v117, v115
	v_fmac_f16_e32 v118, 0x36a6, v106
	v_add_f16_e32 v22, v22, v21
	v_add_f16_e32 v90, v90, v92
	v_add_f16_e64 v116, v171, v122
	v_fma_f16 v122, v110, 0xb93d, -v156
	v_add_f16_e32 v115, v118, v115
	v_fmac_f16_e32 v119, 0xb08e, v103
	v_add_f16_e32 v22, v27, v22
	v_add_f16_e32 v27, v94, v90
	;; [unrolled: 1-line block ×3, first 2 shown]
	v_fma_f16 v122, v112, 0xb08e, -v161
	v_add_f16_e32 v115, v119, v115
	v_fma_f16 v119, v110, 0xb08e, -v141
	v_add_f16_e32 v22, v28, v22
	v_add_f16_e32 v27, v88, v27
	v_mul_f16_e64 v138, 0xb482, v123
	v_mul_f16_e32 v123, 0xbbeb, v123
	v_add_f16_e32 v120, v121, v120
	v_fma_f16 v121, v114, 0x36a6, -v124
	v_mul_f16_e32 v126, 0x3abb, v107
	v_add_f16_e32 v117, v122, v117
	v_add_f16_e32 v119, v92, v119
	v_fma_f16 v122, v112, 0xbbad, -v149
	v_fma_f16 v110, v110, 0x36a6, -v125
	v_add_f16_e32 v22, v29, v22
	v_add_f16_e32 v27, v93, v27
	;; [unrolled: 1-line block ×3, first 2 shown]
	v_fma_f16 v121, v108, 0xb08e, -v123
	v_fmac_f16_e64 v167, 0xb93d, v107
	v_mul_f16_e64 v128, 0x36a6, v109
	v_add_f16_e32 v119, v122, v119
	v_fma_f16 v122, v113, 0x36a6, -v152
	v_fmac_f16_e64 v155, 0xb08e, v107
	v_add_f16_e32 v110, v92, v110
	v_fma_f16 v112, v112, 0xb93d, -v129
	v_fmac_f16_e64 v139, 0x36a6, v107
	v_sub_f16_e32 v94, v96, v127
	v_add_f16_e32 v28, v126, v95
	v_add_f16_e32 v22, v30, v22
	;; [unrolled: 1-line block ×4, first 2 shown]
	v_fma_f16 v118, v113, 0x3abb, -v164
	v_add_f16_e64 v121, v21, v167
	v_fmac_f16_e64 v159, 0xb08e, v109
	v_mul_f16_e64 v132, 0xb08e, v111
	v_add_f16_e32 v119, v122, v119
	v_add_f16_e64 v122, v21, v155
	v_add_f16_e32 v110, v112, v110
	v_fma_f16 v112, v113, 0xbbad, -v133
	v_add_f16_e64 v113, v21, v139
	v_add_f16_e32 v88, v92, v94
	v_sub_f16_e64 v92, v98, v131
	v_add_f16_e32 v21, v21, v28
	v_add_f16_e64 v28, v128, v97
	v_add_f16_e32 v22, v25, v22
	v_add_f16_e32 v25, v91, v27
	;; [unrolled: 1-line block ×3, first 2 shown]
	v_fma_f16 v118, v114, 0xbbad, -v166
	v_add_f16_e64 v121, v159, v121
	v_fmac_f16_e64 v169, 0x3abb, v111
	v_fmac_f16_e64 v147, 0xbbad, v109
	;; [unrolled: 1-line block ×3, first 2 shown]
	v_mul_f16_e64 v136, 0xb93d, v106
	v_add_f16_e32 v29, v92, v88
	v_sub_f16_e64 v30, v100, v135
	v_add_f16_e32 v21, v28, v21
	v_add_f16_e64 v28, v132, v99
	v_add_f16_e32 v22, v26, v22
	v_add_f16_e32 v25, v86, v25
	;; [unrolled: 1-line block ×3, first 2 shown]
	v_fma_f16 v118, v108, 0x36a6, -v163
	v_add_f16_e64 v121, v169, v121
	v_fmac_f16_e64 v172, 0xbbad, v106
	v_add_f16_e64 v122, v147, v122
	v_fmac_f16_e64 v158, 0x36a6, v111
	v_add_f16_e32 v109, v112, v110
	v_fma_f16 v110, v114, 0xb08e, -v137
	v_add_f16_e64 v112, v143, v113
	v_fmac_f16_e64 v146, 0xbbad, v111
	v_mul_f16_e64 v140, 0xbbad, v103
	v_add_f16_e32 v27, v30, v29
	v_sub_f16_e64 v29, v102, v134
	v_add_f16_e32 v21, v28, v21
	v_add_f16_e64 v26, v136, v101
	v_add_f16_e32 v22, v23, v22
	v_add_f16_e32 v23, v89, v25
	;; [unrolled: 1-line block ×3, first 2 shown]
	v_add_f16_e64 v118, v172, v121
	v_fma_f16 v121, v114, 0x3abb, -v154
	v_add_f16_e64 v107, v158, v122
	v_fmac_f16_e64 v162, 0x3abb, v106
	v_add_f16_e32 v109, v110, v109
	v_add_f16_e64 v110, v146, v112
	v_fmac_f16_e64 v150, 0xb08e, v106
	v_add_f16_e32 v27, v29, v27
	v_sub_f16_e64 v28, v105, v138
	v_add_f16_e32 v21, v26, v21
	v_add_f16_e64 v25, v140, v104
	v_add_f16_e32 v22, v24, v22
	v_add_f16_e32 v23, v85, v23
	;; [unrolled: 1-line block ×3, first 2 shown]
	v_fma_f16 v121, v108, 0xb93d, -v151
	v_add_f16_e64 v107, v162, v107
	v_fmac_f16_e64 v165, 0xb93d, v103
	v_fma_f16 v90, v108, 0x3abb, -v144
	v_add_f16_e64 v96, v150, v110
	v_fmac_f16_e64 v153, 0x3abb, v103
	v_fma_f16 v174, v103, 0x36a6, -v168
	v_fmac_f16_e64 v168, 0x36a6, v103
	v_fma_f16 v175, 0xb08e, v108, v123
	v_add_f16_e32 v24, v28, v27
	v_add_f16_e32 v21, v25, v21
	v_and_b32_e32 v25, 0xffff, v34
	v_add_f16_e32 v19, v19, v22
	v_add_f16_e32 v22, v83, v23
	;; [unrolled: 1-line block ×3, first 2 shown]
	v_add_f16_e64 v107, v165, v107
	v_add_f16_e32 v23, v90, v109
	v_add_f16_e64 v26, v153, v96
	v_add_f16_e64 v118, v168, v118
	;; [unrolled: 1-line block ×4, first 2 shown]
	v_lshlrev_b32_e32 v25, 2, v25
	v_pack_b32_f16 v21, v21, v24
	v_pack_b32_f16 v19, v19, v22
	;; [unrolled: 1-line block ×10, first 2 shown]
	v_perm_b32 v34, v84, v20, 0x5040100
	ds_store_2addr_b32 v25, v19, v21 offset1:1
	ds_store_2addr_b32 v25, v23, v22 offset0:2 offset1:3
	ds_store_2addr_b32 v25, v26, v24 offset0:4 offset1:5
	;; [unrolled: 1-line block ×4, first 2 shown]
	ds_store_b32 v25, v34 offset:40
.LBB0_17:
	s_wait_alu 0xfffe
	s_or_b32 exec_lo, exec_lo, s1
	v_add_nc_u32_e32 v83, 0x900, v33
	v_add_nc_u32_e32 v19, 0xe00, v33
	;; [unrolled: 1-line block ×3, first 2 shown]
	global_wb scope:SCOPE_SE
	s_wait_dscnt 0x0
	s_barrier_signal -1
	s_barrier_wait -1
	global_inv scope:SCOPE_SE
	ds_load_2addr_b32 v[21:22], v33 offset1:154
	ds_load_2addr_b32 v[23:24], v83 offset0:40 offset1:194
	v_add_nc_u32_e32 v29, 0x1200, v33
	ds_load_2addr_b32 v[25:26], v19 offset0:28 offset1:182
	ds_load_2addr_b32 v[27:28], v27 offset0:52 offset1:206
	;; [unrolled: 1-line block ×3, first 2 shown]
	global_wb scope:SCOPE_SE
	s_wait_dscnt 0x0
	s_barrier_signal -1
	s_barrier_wait -1
	global_inv scope:SCOPE_SE
	v_lshrrev_b32_e32 v19, 16, v21
	v_lshrrev_b32_e32 v85, 16, v24
	v_mul_f16_e32 v93, v51, v24
	v_lshrrev_b32_e32 v88, 16, v26
	v_lshrrev_b32_e32 v86, 16, v25
	;; [unrolled: 1-line block ×3, first 2 shown]
	v_mul_f16_e32 v51, v51, v85
	v_lshrrev_b32_e32 v92, 16, v30
	v_mul_f16_e32 v95, v50, v26
	v_mul_f16_e32 v50, v50, v88
	;; [unrolled: 1-line block ×6, first 2 shown]
	v_fmac_f16_e32 v51, v40, v24
	v_fma_f16 v85, v40, v85, -v93
	v_fmac_f16_e32 v50, v39, v26
	v_mul_f16_e32 v24, v47, v92
	v_mul_f16_e32 v26, v47, v30
	v_lshrrev_b32_e32 v34, 16, v22
	v_fma_f16 v86, v41, v86, -v94
	v_fmac_f16_e32 v49, v41, v25
	v_lshrrev_b32_e32 v87, 16, v27
	v_fma_f16 v25, v39, v88, -v95
	v_lshrrev_b32_e32 v89, 16, v28
	v_fmac_f16_e32 v48, v38, v29
	v_fma_f16 v29, v38, v90, -v96
	v_sub_f16_e32 v38, v21, v51
	v_lshrrev_b32_e32 v91, 16, v23
	v_fmac_f16_e32 v24, v37, v30
	v_fma_f16 v26, v37, v92, -v26
	v_sub_f16_e32 v37, v19, v85
	v_sub_f16_e32 v39, v22, v49
	;; [unrolled: 1-line block ×5, first 2 shown]
	v_fma_f16 v41, v21, 2.0, -v38
	v_sub_f16_e32 v21, v28, v48
	v_sub_f16_e32 v29, v89, v29
	v_fma_f16 v49, v19, 2.0, -v37
	v_sub_f16_e32 v19, v23, v24
	v_sub_f16_e32 v30, v91, v26
	v_fma_f16 v50, v22, 2.0, -v39
	v_fma_f16 v51, v34, 2.0, -v40
	;; [unrolled: 1-line block ×8, first 2 shown]
	v_pack_b32_f16 v23, v41, v49
	v_pack_b32_f16 v37, v38, v37
	;; [unrolled: 1-line block ×10, first 2 shown]
	ds_store_2addr_b32 v46, v23, v37 offset1:11
	ds_store_2addr_b32 v42, v38, v39 offset1:11
	ds_store_2addr_b32 v43, v24, v25 offset1:11
	ds_store_2addr_b32 v44, v26, v27 offset1:11
	ds_store_2addr_b32 v45, v28, v40 offset1:11
	v_add_nc_u32_e32 v25, 0x680, v33
	v_add_nc_u32_e32 v26, 0xd80, v33
	global_wb scope:SCOPE_SE
	s_wait_dscnt 0x0
	s_barrier_signal -1
	s_barrier_wait -1
	global_inv scope:SCOPE_SE
	ds_load_2addr_b32 v[23:24], v33 offset1:220
	ds_load_2addr_b32 v[27:28], v25 offset0:24 offset1:244
	ds_load_2addr_b32 v[25:26], v26 offset0:16 offset1:236
	ds_load_b32 v37, v33 offset:5280
	s_and_saveexec_b32 s1, s0
	s_cbranch_execz .LBB0_19
; %bb.18:
	v_add_nc_u32_e32 v17, 0x200, v33
	v_add_nc_u32_e32 v18, 0x1000, v33
	ds_load_2addr_b32 v[19:20], v83 offset0:18 offset1:238
	ds_load_2addr_b32 v[21:22], v17 offset0:26 offset1:246
	;; [unrolled: 1-line block ×3, first 2 shown]
	ds_load_b32 v71, v33 offset:5896
	s_wait_dscnt 0x3
	v_lshrrev_b32_e32 v30, 16, v19
	v_lshrrev_b32_e32 v84, 16, v20
	s_wait_dscnt 0x2
	v_lshrrev_b32_e32 v29, 16, v21
	v_lshrrev_b32_e32 v34, 16, v22
	;; [unrolled: 3-line block ×3, first 2 shown]
	s_wait_dscnt 0x0
	v_lshrrev_b32_e32 v78, 16, v71
.LBB0_19:
	s_wait_alu 0xfffe
	s_or_b32 exec_lo, exec_lo, s1
	s_wait_dscnt 0x3
	v_lshrrev_b32_e32 v38, 16, v24
	s_wait_dscnt 0x2
	v_lshrrev_b32_e32 v40, 16, v27
	v_lshrrev_b32_e32 v41, 16, v28
	v_mul_f16_e32 v42, v73, v24
	s_wait_dscnt 0x1
	v_lshrrev_b32_e32 v44, 16, v25
	v_mul_f16_e32 v43, v73, v38
	v_lshrrev_b32_e32 v45, 16, v26
	s_wait_dscnt 0x0
	v_lshrrev_b32_e32 v46, 16, v37
	v_fma_f16 v38, v4, v38, -v42
	v_mul_f16_e32 v42, v69, v41
	v_fmac_f16_e32 v43, v4, v24
	v_mul_f16_e32 v4, v70, v40
	v_mul_f16_e32 v24, v70, v27
	;; [unrolled: 1-line block ×4, first 2 shown]
	v_fmac_f16_e32 v42, v6, v28
	v_fmac_f16_e32 v4, v5, v27
	v_fma_f16 v5, v5, v40, -v24
	v_mul_f16_e32 v24, v65, v46
	v_mul_f16_e32 v27, v65, v37
	;; [unrolled: 1-line block ×4, first 2 shown]
	v_fmac_f16_e32 v48, v7, v25
	v_mul_f16_e32 v25, v62, v25
	v_fmac_f16_e32 v24, v16, v37
	v_fma_f16 v16, v16, v46, -v27
	v_fmac_f16_e32 v28, v15, v26
	v_fma_f16 v15, v15, v45, -v40
	v_fma_f16 v6, v6, v41, -v47
	;; [unrolled: 1-line block ×3, first 2 shown]
	v_add_f16_e32 v25, v43, v24
	v_add_f16_e32 v26, v38, v16
	;; [unrolled: 1-line block ×4, first 2 shown]
	v_sub_f16_e32 v16, v38, v16
	v_sub_f16_e32 v4, v4, v28
	;; [unrolled: 1-line block ×3, first 2 shown]
	v_add_f16_e32 v15, v42, v48
	v_add_f16_e32 v28, v6, v7
	v_sub_f16_e32 v38, v48, v42
	v_sub_f16_e32 v6, v7, v6
	v_add_f16_e32 v7, v27, v25
	v_add_f16_e32 v40, v37, v26
	v_sub_f16_e32 v24, v43, v24
	v_lshrrev_b32_e32 v39, 16, v23
	v_sub_f16_e32 v41, v27, v25
	v_sub_f16_e32 v42, v37, v26
	;; [unrolled: 1-line block ×6, first 2 shown]
	v_add_f16_e32 v43, v38, v4
	v_add_f16_e32 v44, v6, v5
	v_sub_f16_e32 v45, v38, v4
	v_sub_f16_e32 v46, v6, v5
	v_add_f16_e32 v7, v15, v7
	v_add_f16_e32 v15, v28, v40
	v_sub_f16_e32 v4, v4, v24
	v_sub_f16_e32 v5, v5, v16
	;; [unrolled: 1-line block ×4, first 2 shown]
	v_add_f16_e32 v24, v43, v24
	v_add_f16_e32 v16, v44, v16
	;; [unrolled: 1-line block ×4, first 2 shown]
	v_mul_f16_e32 v25, 0x3a52, v25
	v_mul_f16_e32 v26, 0x3a52, v26
	;; [unrolled: 1-line block ×8, first 2 shown]
	v_fmamk_f16 v7, v7, 0xbcab, v23
	v_fmamk_f16 v15, v15, 0xbcab, v28
	;; [unrolled: 1-line block ×4, first 2 shown]
	v_fma_f16 v39, v41, 0x39e0, -v39
	v_fma_f16 v40, v42, 0x39e0, -v40
	;; [unrolled: 1-line block ×4, first 2 shown]
	v_fmamk_f16 v41, v38, 0xb574, v43
	v_fmamk_f16 v42, v6, 0xb574, v44
	v_fma_f16 v4, v4, 0xbb00, -v43
	v_fma_f16 v5, v5, 0xbb00, -v44
	v_fma_f16 v38, v38, 0x3574, -v45
	v_fma_f16 v6, v6, 0x3574, -v46
	v_add_f16_e32 v27, v27, v7
	v_add_f16_e32 v37, v37, v15
	v_fmac_f16_e32 v41, 0xb70e, v24
	v_fmac_f16_e32 v42, 0xb70e, v16
	v_add_f16_e32 v39, v39, v7
	v_add_f16_e32 v40, v40, v15
	v_add_f16_e32 v7, v25, v7
	v_add_f16_e32 v15, v26, v15
	v_fmac_f16_e32 v4, 0xb70e, v24
	v_fmac_f16_e32 v6, 0xb70e, v16
	;; [unrolled: 1-line block ×4, first 2 shown]
	v_add_f16_e32 v16, v42, v27
	v_sub_f16_e32 v24, v37, v41
	v_add_f16_e32 v25, v6, v7
	v_sub_f16_e32 v26, v15, v38
	v_sub_f16_e32 v43, v39, v5
	v_add_f16_e32 v44, v4, v40
	v_add_f16_e32 v5, v5, v39
	v_sub_f16_e32 v4, v40, v4
	v_sub_f16_e32 v6, v7, v6
	v_add_f16_e32 v7, v38, v15
	v_sub_f16_e32 v15, v27, v42
	v_add_f16_e32 v27, v41, v37
	v_pack_b32_f16 v23, v23, v28
	v_pack_b32_f16 v16, v16, v24
	;; [unrolled: 1-line block ×7, first 2 shown]
	global_wb scope:SCOPE_SE
	s_barrier_signal -1
	s_barrier_wait -1
	global_inv scope:SCOPE_SE
	ds_store_2addr_b32 v58, v23, v16 offset1:22
	ds_store_2addr_b32 v58, v24, v25 offset0:44 offset1:66
	ds_store_2addr_b32 v58, v4, v5 offset0:88 offset1:110
	ds_store_b32 v58, v6 offset:528
	s_and_saveexec_b32 s1, s0
	s_cbranch_execz .LBB0_21
; %bb.20:
	v_mul_f16_e32 v4, v56, v34
	v_mul_f16_e32 v15, v54, v30
	;; [unrolled: 1-line block ×6, first 2 shown]
	v_fmac_f16_e32 v4, v0, v22
	v_mul_f16_e32 v24, v57, v71
	v_fmac_f16_e32 v15, v1, v19
	v_mul_f16_e32 v22, v56, v22
	;; [unrolled: 2-line block ×3, first 2 shown]
	v_mul_f16_e32 v19, v54, v19
	v_fmac_f16_e32 v5, v14, v71
	v_fmac_f16_e32 v6, v3, v17
	v_fmac_f16_e32 v7, v2, v20
	v_fma_f16 v14, v14, v78, -v24
	v_fma_f16 v0, v0, v34, -v22
	v_mul_f16_e32 v20, v52, v20
	v_mul_f16_e32 v17, v53, v17
	v_fma_f16 v13, v13, v68, -v18
	v_fma_f16 v1, v1, v30, -v19
	v_sub_f16_e32 v23, v4, v5
	v_fma_f16 v2, v2, v84, -v20
	v_fma_f16 v3, v3, v64, -v17
	v_add_f16_e32 v17, v14, v0
	v_add_f16_e32 v19, v13, v1
	v_sub_f16_e32 v25, v6, v7
	v_sub_f16_e32 v18, v15, v16
	v_add_f16_e32 v22, v2, v3
	v_add_f16_e32 v4, v5, v4
	;; [unrolled: 1-line block ×3, first 2 shown]
	v_sub_f16_e32 v24, v23, v25
	v_sub_f16_e32 v20, v25, v18
	v_add_f16_e32 v25, v25, v18
	v_add_f16_e32 v5, v16, v15
	;; [unrolled: 1-line block ×4, first 2 shown]
	v_sub_f16_e32 v2, v3, v2
	v_add_f16_e32 v15, v25, v23
	v_add_f16_e32 v25, v5, v4
	;; [unrolled: 1-line block ×3, first 2 shown]
	v_sub_f16_e32 v1, v1, v13
	v_sub_f16_e32 v0, v0, v14
	;; [unrolled: 1-line block ×3, first 2 shown]
	v_add_f16_e32 v25, v6, v25
	v_fmamk_f16 v7, v26, 0xbcab, v29
	v_sub_f16_e32 v26, v4, v6
	v_sub_f16_e32 v14, v2, v1
	;; [unrolled: 1-line block ×3, first 2 shown]
	v_add_f16_e32 v2, v2, v1
	v_sub_f16_e32 v6, v6, v5
	v_mul_f16_e32 v3, 0x3a52, v26
	v_add_f16_e32 v13, v21, v25
	v_sub_f16_e32 v18, v18, v23
	v_mul_f16_e32 v27, 0x3a52, v27
	v_sub_f16_e32 v22, v22, v19
	v_add_f16_e32 v2, v2, v0
	v_sub_f16_e32 v0, v1, v0
	v_mul_f16_e32 v20, 0x3846, v20
	v_fmamk_f16 v26, v6, 0x2b26, v3
	v_fmamk_f16 v25, v25, 0xbcab, v13
	v_mul_f16_e32 v14, 0x3846, v14
	v_mul_f16_e32 v34, 0xbb00, v18
	v_sub_f16_e32 v17, v19, v17
	v_fmamk_f16 v16, v22, 0x2b26, v27
	v_mul_f16_e32 v22, 0x2b26, v22
	v_mul_f16_e32 v6, 0x2b26, v6
	v_sub_f16_e32 v4, v5, v4
	v_mul_f16_e32 v19, 0xbb00, v0
	v_fmamk_f16 v28, v24, 0xb574, v20
	v_add_f16_e32 v23, v26, v25
	v_fmamk_f16 v26, v30, 0xb574, v14
	v_fma_f16 v1, v24, 0x3574, -v34
	v_fma_f16 v5, v17, 0xb9e0, -v27
	;; [unrolled: 1-line block ×8, first 2 shown]
	v_fmac_f16_e32 v28, 0xb70e, v15
	v_add_f16_e32 v16, v16, v7
	v_fmac_f16_e32 v26, 0xb70e, v2
	v_fmac_f16_e32 v1, 0xb70e, v15
	v_add_f16_e32 v5, v5, v7
	v_mad_u16 v14, 0x9a, v35, v36
	v_add_f16_e32 v3, v3, v25
	v_fmac_f16_e32 v19, 0xb70e, v2
	v_add_f16_e32 v6, v17, v7
	v_fmac_f16_e32 v18, 0xb70e, v15
	v_fmac_f16_e32 v0, 0xb70e, v2
	v_add_f16_e32 v2, v4, v25
	v_add_f16_e32 v21, v28, v16
	;; [unrolled: 1-line block ×3, first 2 shown]
	v_sub_f16_e32 v1, v5, v1
	v_and_b32_e32 v5, 0xffff, v14
	v_sub_f16_e32 v14, v16, v28
	v_add_f16_e32 v16, v26, v23
	v_sub_f16_e32 v7, v3, v19
	v_sub_f16_e32 v15, v6, v18
	v_add_f16_e32 v17, v0, v2
	v_add_f16_e32 v6, v18, v6
	;; [unrolled: 1-line block ×3, first 2 shown]
	v_sub_f16_e32 v0, v2, v0
	v_sub_f16_e32 v24, v23, v26
	v_lshlrev_b32_e32 v2, 2, v5
	v_pack_b32_f16 v5, v13, v29
	v_pack_b32_f16 v13, v16, v14
	v_pack_b32_f16 v1, v3, v1
	v_pack_b32_f16 v0, v0, v6
	v_pack_b32_f16 v3, v17, v15
	v_pack_b32_f16 v4, v7, v4
	v_pack_b32_f16 v6, v24, v21
	ds_store_2addr_b32 v2, v5, v13 offset1:22
	ds_store_2addr_b32 v2, v1, v0 offset0:44 offset1:66
	ds_store_2addr_b32 v2, v3, v4 offset0:88 offset1:110
	ds_store_b32 v2, v6 offset:528
.LBB0_21:
	s_wait_alu 0xfffe
	s_or_b32 exec_lo, exec_lo, s1
	v_add_nc_u32_e32 v15, 0x400, v33
	v_add_nc_u32_e32 v16, 0x900, v33
	;; [unrolled: 1-line block ×4, first 2 shown]
	global_wb scope:SCOPE_SE
	s_wait_dscnt 0x0
	s_barrier_signal -1
	s_barrier_wait -1
	global_inv scope:SCOPE_SE
	ds_load_2addr_b32 v[0:1], v33 offset1:154
	ds_load_2addr_b32 v[2:3], v15 offset0:52 offset1:206
	ds_load_2addr_b32 v[4:5], v16 offset0:40 offset1:194
	;; [unrolled: 1-line block ×4, first 2 shown]
	global_wb scope:SCOPE_SE
	s_wait_dscnt 0x0
	s_barrier_signal -1
	s_barrier_wait -1
	global_inv scope:SCOPE_SE
	v_lshrrev_b32_e32 v21, 16, v2
	v_lshrrev_b32_e32 v22, 16, v4
	;; [unrolled: 1-line block ×3, first 2 shown]
	v_mul_f16_e32 v28, v82, v2
	v_mul_f16_e32 v30, v81, v4
	v_lshrrev_b32_e32 v24, 16, v13
	v_lshrrev_b32_e32 v25, 16, v3
	v_mul_f16_e32 v35, v82, v21
	v_fma_f16 v21, v8, v21, -v28
	v_mul_f16_e32 v28, v81, v22
	v_fma_f16 v22, v9, v22, -v30
	v_mul_f16_e32 v30, v80, v23
	v_lshrrev_b32_e32 v26, 16, v5
	v_mul_f16_e32 v34, v80, v6
	v_mul_f16_e32 v36, v79, v24
	v_fmac_f16_e32 v35, v8, v2
	v_fmac_f16_e32 v28, v9, v4
	;; [unrolled: 1-line block ×3, first 2 shown]
	v_mul_f16_e32 v2, v79, v13
	v_mul_f16_e32 v4, v82, v25
	v_mul_f16_e32 v6, v82, v3
	v_lshrrev_b32_e32 v27, 16, v7
	v_lshrrev_b32_e32 v29, 16, v14
	v_fma_f16 v23, v10, v23, -v34
	v_fmac_f16_e32 v36, v11, v13
	v_mul_f16_e32 v13, v81, v26
	v_mul_f16_e32 v34, v81, v5
	v_fma_f16 v2, v11, v24, -v2
	v_fmac_f16_e32 v4, v8, v3
	v_fma_f16 v3, v8, v25, -v6
	v_add_f16_e32 v6, v28, v30
	v_lshrrev_b32_e32 v19, 16, v0
	v_fmac_f16_e32 v13, v9, v5
	v_fma_f16 v5, v9, v26, -v34
	v_mul_f16_e32 v8, v80, v27
	v_mul_f16_e32 v9, v80, v7
	;; [unrolled: 1-line block ×3, first 2 shown]
	v_add_f16_e32 v25, v0, v35
	v_fma_f16 v6, -0.5, v6, v0
	v_sub_f16_e32 v26, v21, v2
	v_add_f16_e32 v37, v35, v36
	v_fmac_f16_e32 v8, v10, v7
	v_fma_f16 v7, v10, v27, -v9
	v_fmac_f16_e32 v24, v11, v14
	v_add_f16_e32 v9, v25, v28
	v_fmamk_f16 v10, v26, 0xbb9c, v6
	v_sub_f16_e32 v25, v22, v23
	v_sub_f16_e32 v27, v35, v28
	;; [unrolled: 1-line block ×3, first 2 shown]
	v_mul_f16_e32 v14, v79, v14
	v_fma_f16 v0, -0.5, v37, v0
	v_fmac_f16_e32 v6, 0x3b9c, v26
	v_add_f16_e32 v37, v19, v21
	v_fmac_f16_e32 v10, 0xb8b4, v25
	v_add_f16_e32 v27, v27, v34
	v_fma_f16 v11, v11, v29, -v14
	v_fmamk_f16 v14, v25, 0x3b9c, v0
	v_sub_f16_e32 v29, v28, v35
	v_sub_f16_e32 v34, v30, v36
	v_fmac_f16_e32 v6, 0x38b4, v25
	v_add_f16_e32 v38, v22, v23
	v_fmac_f16_e32 v0, 0xbb9c, v25
	v_add_f16_e32 v25, v37, v22
	v_add_f16_e32 v9, v9, v30
	v_fmac_f16_e32 v10, 0x34f2, v27
	v_add_f16_e32 v29, v29, v34
	v_fma_f16 v34, -0.5, v38, v19
	v_sub_f16_e32 v35, v35, v36
	v_fmac_f16_e32 v6, 0x34f2, v27
	v_add_f16_e32 v25, v25, v23
	v_add_f16_e32 v27, v21, v2
	;; [unrolled: 1-line block ×3, first 2 shown]
	v_fmac_f16_e32 v14, 0xb8b4, v26
	v_fmac_f16_e32 v0, 0x38b4, v26
	v_fmamk_f16 v26, v35, 0x3b9c, v34
	v_sub_f16_e32 v28, v28, v30
	v_sub_f16_e32 v30, v21, v22
	;; [unrolled: 1-line block ×3, first 2 shown]
	v_fmac_f16_e32 v19, -0.5, v27
	v_add_f16_e32 v25, v25, v2
	v_fmac_f16_e32 v34, 0xbb9c, v35
	v_sub_f16_e32 v21, v22, v21
	v_sub_f16_e32 v2, v23, v2
	v_add_f16_e32 v22, v13, v8
	v_fmac_f16_e32 v14, 0x34f2, v29
	v_fmac_f16_e32 v0, 0x34f2, v29
	;; [unrolled: 1-line block ×3, first 2 shown]
	v_add_f16_e32 v27, v30, v36
	v_fmamk_f16 v29, v28, 0xbb9c, v19
	v_fmac_f16_e32 v34, 0xb8b4, v28
	v_add_f16_e32 v2, v21, v2
	v_fmac_f16_e32 v19, 0x3b9c, v28
	v_add_f16_e32 v21, v1, v4
	v_fma_f16 v22, -0.5, v22, v1
	v_sub_f16_e32 v23, v3, v11
	v_fmac_f16_e32 v26, 0x34f2, v27
	v_fmac_f16_e32 v29, 0x38b4, v35
	;; [unrolled: 1-line block ×4, first 2 shown]
	v_add_f16_e32 v21, v21, v13
	v_fmamk_f16 v27, v23, 0xbb9c, v22
	v_sub_f16_e32 v28, v5, v7
	v_sub_f16_e32 v30, v4, v13
	;; [unrolled: 1-line block ×3, first 2 shown]
	v_fmac_f16_e32 v22, 0x3b9c, v23
	v_add_f16_e32 v36, v4, v24
	v_lshrrev_b32_e32 v20, 16, v1
	v_add_f16_e32 v21, v21, v8
	v_fmac_f16_e32 v27, 0xb8b4, v28
	v_add_f16_e32 v30, v30, v35
	v_fmac_f16_e32 v22, 0x38b4, v28
	v_fmac_f16_e32 v1, -0.5, v36
	v_sub_f16_e32 v35, v13, v4
	v_sub_f16_e32 v36, v8, v24
	v_fmac_f16_e32 v29, 0x34f2, v2
	v_fmac_f16_e32 v19, 0x34f2, v2
	v_add_f16_e32 v2, v21, v24
	v_fmac_f16_e32 v27, 0x34f2, v30
	v_fmac_f16_e32 v22, 0x34f2, v30
	v_fmamk_f16 v21, v28, 0x3b9c, v1
	v_add_f16_e32 v30, v5, v7
	v_fmac_f16_e32 v1, 0xbb9c, v28
	v_add_f16_e32 v28, v20, v3
	v_sub_f16_e32 v4, v4, v24
	v_add_f16_e32 v24, v35, v36
	v_add_f16_e32 v35, v3, v11
	v_fma_f16 v30, -0.5, v30, v20
	v_fmac_f16_e32 v21, 0xb8b4, v23
	v_fmac_f16_e32 v1, 0x38b4, v23
	v_add_f16_e32 v23, v28, v5
	v_sub_f16_e32 v8, v13, v8
	v_fmac_f16_e32 v20, -0.5, v35
	v_fmamk_f16 v28, v4, 0x3b9c, v30
	v_fmac_f16_e32 v21, 0x34f2, v24
	v_fmac_f16_e32 v1, 0x34f2, v24
	v_add_f16_e32 v13, v23, v7
	v_sub_f16_e32 v23, v3, v5
	v_sub_f16_e32 v24, v11, v7
	v_fmamk_f16 v35, v8, 0xbb9c, v20
	v_sub_f16_e32 v3, v5, v3
	v_sub_f16_e32 v5, v7, v11
	v_fmac_f16_e32 v30, 0xbb9c, v4
	v_fmac_f16_e32 v20, 0x3b9c, v8
	;; [unrolled: 1-line block ×3, first 2 shown]
	v_add_f16_e32 v7, v23, v24
	v_fmac_f16_e32 v35, 0x38b4, v4
	v_add_f16_e32 v3, v3, v5
	v_fmac_f16_e32 v30, 0xb8b4, v8
	v_fmac_f16_e32 v20, 0xb8b4, v4
	v_add_f16_e32 v4, v13, v11
	v_fmac_f16_e32 v28, 0x34f2, v7
	v_fmac_f16_e32 v35, 0x34f2, v3
	;; [unrolled: 1-line block ×4, first 2 shown]
	v_pack_b32_f16 v3, v9, v25
	v_pack_b32_f16 v5, v10, v26
	;; [unrolled: 1-line block ×10, first 2 shown]
	ds_store_2addr_b32 v33, v3, v5 offset1:154
	ds_store_2addr_b32 v15, v7, v0 offset0:52 offset1:206
	ds_store_2addr_b32 v16, v6, v2 offset0:40 offset1:194
	;; [unrolled: 1-line block ×4, first 2 shown]
	global_wb scope:SCOPE_SE
	s_wait_dscnt 0x0
	s_barrier_signal -1
	s_barrier_wait -1
	global_inv scope:SCOPE_SE
	ds_load_2addr_b32 v[0:1], v33 offset1:154
	ds_load_2addr_b32 v[2:3], v16 offset0:40 offset1:194
	ds_load_2addr_b32 v[4:5], v17 offset0:28 offset1:182
	;; [unrolled: 1-line block ×4, first 2 shown]
	s_wait_dscnt 0x4
	v_lshrrev_b32_e32 v10, 16, v0
	s_wait_dscnt 0x3
	v_lshrrev_b32_e32 v11, 16, v3
	;; [unrolled: 2-line block ×3, first 2 shown]
	v_lshrrev_b32_e32 v20, 16, v5
	v_mul_f16_e32 v28, v76, v4
	s_wait_dscnt 0x0
	v_lshrrev_b32_e32 v22, 16, v8
	v_mul_f16_e32 v24, v77, v11
	v_mul_f16_e32 v27, v76, v14
	;; [unrolled: 1-line block ×3, first 2 shown]
	v_lshrrev_b32_e32 v25, 16, v9
	v_lshrrev_b32_e32 v13, 16, v1
	v_fmac_f16_e32 v24, v59, v3
	v_mul_f16_e32 v3, v75, v20
	v_fmac_f16_e32 v27, v66, v4
	v_fma_f16 v4, v66, v14, -v28
	v_mul_f16_e32 v14, v75, v5
	v_fma_f16 v11, v59, v11, -v26
	v_fmac_f16_e32 v3, v60, v5
	v_mul_f16_e32 v5, v74, v22
	v_mul_f16_e32 v26, v74, v8
	;; [unrolled: 1-line block ×3, first 2 shown]
	v_fma_f16 v14, v60, v20, -v14
	v_mul_f16_e32 v20, v72, v9
	v_lshrrev_b32_e32 v19, 16, v6
	v_lshrrev_b32_e32 v21, 16, v7
	v_fmac_f16_e32 v5, v63, v8
	v_fma_f16 v8, v63, v22, -v26
	v_lshrrev_b32_e32 v23, 16, v2
	v_fmac_f16_e32 v28, v67, v9
	v_fma_f16 v20, v67, v25, -v20
	v_sub_f16_e32 v9, v0, v24
	v_sub_f16_e32 v11, v10, v11
	v_sub_f16_e32 v22, v1, v27
	v_sub_f16_e32 v4, v13, v4
	v_sub_f16_e32 v3, v6, v3
	v_sub_f16_e32 v14, v19, v14
	v_sub_f16_e32 v5, v7, v5
	v_sub_f16_e32 v8, v21, v8
	v_sub_f16_e32 v24, v2, v28
	v_sub_f16_e32 v20, v23, v20
	v_fma_f16 v0, v0, 2.0, -v9
	v_fma_f16 v10, v10, 2.0, -v11
	;; [unrolled: 1-line block ×10, first 2 shown]
	v_pack_b32_f16 v0, v0, v10
	v_pack_b32_f16 v1, v1, v13
	;; [unrolled: 1-line block ×10, first 2 shown]
	ds_store_2addr_b32 v33, v0, v1 offset1:154
	ds_store_2addr_b32 v17, v4, v3 offset0:28 offset1:182
	ds_store_2addr_b32 v15, v6, v7 offset0:52 offset1:206
	ds_store_2addr_b32 v16, v2, v9 offset0:40 offset1:194
	ds_store_2addr_b32 v18, v5, v8 offset0:80 offset1:234
	global_wb scope:SCOPE_SE
	s_wait_dscnt 0x0
	s_barrier_signal -1
	s_barrier_wait -1
	global_inv scope:SCOPE_SE
	s_and_b32 exec_lo, exec_lo, vcc_lo
	s_cbranch_execz .LBB0_23
; %bb.22:
	s_clause 0x6
	global_load_b32 v0, v31, s[14:15]
	global_load_b32 v1, v31, s[14:15] offset:560
	global_load_b32 v6, v31, s[14:15] offset:1120
	;; [unrolled: 1-line block ×6, first 2 shown]
	v_mad_co_u64_u32 v[9:10], null, s6, v12, 0
	v_mad_co_u64_u32 v[13:14], null, s4, v32, 0
	ds_load_b32 v21, v33
	v_add_nc_u32_e32 v2, 0x200, v31
	v_add_nc_u32_e32 v3, 0x600, v31
	ds_load_2addr_b32 v[15:16], v2 offset0:12 offset1:152
	ds_load_2addr_b32 v[17:18], v3 offset0:36 offset1:176
	v_dual_mov_b32 v2, v10 :: v_dual_mov_b32 v3, v14
	v_add_nc_u32_e32 v4, 0xa00, v31
	s_mov_b32 s22, 0xe6bb82fe
	s_mov_b32 s23, 0x3f454725
	s_mul_u64 s[20:21], s[4:5], 0x230
	v_mad_co_u64_u32 v[10:11], null, s7, v12, v[2:3]
	ds_load_2addr_b32 v[19:20], v4 offset0:60 offset1:200
                                        ; kill: def $vgpr4 killed $sgpr0 killed $exec
	v_mad_co_u64_u32 v[11:12], null, s5, v32, v[3:4]
	s_clause 0x3
	global_load_b32 v3, v31, s[14:15] offset:3920
	global_load_b32 v2, v31, s[14:15] offset:4480
	;; [unrolled: 1-line block ×4, first 2 shown]
	s_wait_dscnt 0x3
	v_lshrrev_b32_e32 v12, 16, v21
	v_lshlrev_b64_e32 v[9:10], 2, v[9:10]
	v_mov_b32_e32 v14, v11
	s_wait_dscnt 0x2
	v_lshrrev_b32_e32 v22, 16, v15
	v_lshrrev_b32_e32 v24, 16, v16
	s_wait_dscnt 0x1
	v_lshrrev_b32_e32 v25, 16, v17
	v_lshrrev_b32_e32 v26, 16, v18
	v_lshlrev_b64_e32 v[13:14], 2, v[13:14]
	s_wait_dscnt 0x0
	v_lshrrev_b32_e32 v27, 16, v19
	v_lshrrev_b32_e32 v37, 16, v20
	s_wait_loadcnt 0xa
	v_lshrrev_b32_e32 v11, 16, v0
	s_wait_loadcnt 0x9
	;; [unrolled: 2-line block ×5, first 2 shown]
	v_lshrrev_b32_e32 v33, 16, v8
	v_mul_f16_e32 v29, v12, v11
	v_mul_f16_e32 v11, v21, v11
	;; [unrolled: 1-line block ×5, first 2 shown]
	v_fmac_f16_e32 v29, v21, v0
	v_mul_f16_e32 v21, v22, v28
	v_fma_f16 v0, v0, v12, -v11
	v_mul_f16_e32 v28, v15, v28
	v_fmac_f16_e32 v35, v16, v6
	v_cvt_f32_f16_e32 v29, v29
	v_fmac_f16_e32 v21, v15, v1
	v_cvt_f32_f16_e32 v0, v0
	v_fma_f16 v15, v1, v22, -v28
	v_fma_f16 v6, v6, v24, -v30
	v_cvt_f64_f32_e32 v[11:12], v29
	v_cvt_f32_f16_e32 v21, v21
	v_cvt_f64_f32_e32 v[0:1], v0
	v_cvt_f32_f16_e32 v22, v15
	v_mul_f16_e32 v29, v17, v32
	v_cvt_f32_f16_e32 v24, v35
	v_cvt_f64_f32_e32 v[15:16], v21
	s_wait_loadcnt 0x5
	v_lshrrev_b32_e32 v34, 16, v23
	v_cvt_f64_f32_e32 v[21:22], v22
	v_mul_f16_e32 v32, v26, v33
	v_fmac_f16_e32 v38, v17, v7
	v_cvt_f32_f16_e32 v17, v6
	v_fma_f16 v25, v7, v25, -v29
	v_cvt_f64_f32_e32 v[6:7], v24
	v_mul_f16_e32 v28, v18, v33
	v_mul_f16_e32 v33, v27, v34
	;; [unrolled: 1-line block ×3, first 2 shown]
	v_fmac_f16_e32 v32, v18, v8
	v_cvt_f32_f16_e32 v24, v38
	v_cvt_f64_f32_e32 v[17:18], v17
	v_fmac_f16_e32 v33, v19, v23
	v_cvt_f32_f16_e32 v19, v25
	v_fma_f16 v27, v23, v27, -v30
	v_cvt_f64_f32_e32 v[23:24], v24
	v_fma_f16 v8, v8, v26, -v28
	v_cvt_f32_f16_e32 v28, v32
	v_cvt_f64_f32_e32 v[25:26], v19
	v_cvt_f32_f16_e32 v34, v27
	v_cvt_f32_f16_e32 v19, v33
	;; [unrolled: 1-line block ×3, first 2 shown]
	v_cvt_f64_f32_e32 v[27:28], v28
	s_delay_alu instid0(VALU_DEP_4) | instskip(NEXT) | instid1(VALU_DEP_4)
	v_cvt_f64_f32_e32 v[34:35], v34
	v_cvt_f64_f32_e32 v[32:33], v19
	s_delay_alu instid0(VALU_DEP_4) | instskip(SKIP_4) | instid1(VALU_DEP_4)
	v_cvt_f64_f32_e32 v[29:30], v8
	v_add_co_u32 v8, vcc_lo, s12, v9
	v_add_co_ci_u32_e32 v9, vcc_lo, s13, v10, vcc_lo
	v_mul_f64_e32 v[11:12], s[22:23], v[11:12]
	v_mul_f64_e32 v[0:1], s[22:23], v[0:1]
	v_add_co_u32 v8, vcc_lo, v8, v13
	s_wait_alu 0xfffd
	v_add_co_ci_u32_e32 v9, vcc_lo, v9, v14, vcc_lo
	v_mul_f64_e32 v[13:14], s[22:23], v[15:16]
	v_mul_f64_e32 v[15:16], s[22:23], v[21:22]
	s_wait_loadcnt 0x4
	v_lshrrev_b32_e32 v10, 16, v36
	v_add_co_u32 v21, vcc_lo, v8, s20
	s_wait_alu 0xfffd
	v_add_co_ci_u32_e32 v22, vcc_lo, s21, v9, vcc_lo
	v_mul_f64_e32 v[6:7], s[22:23], v[6:7]
	v_mul_f16_e32 v38, v37, v10
	v_mul_f16_e32 v10, v20, v10
	v_add_co_u32 v19, vcc_lo, v21, s20
	v_mul_f64_e32 v[17:18], s[22:23], v[17:18]
	s_delay_alu instid0(VALU_DEP_4) | instskip(NEXT) | instid1(VALU_DEP_4)
	v_fmac_f16_e32 v38, v20, v36
	v_fma_f16 v10, v36, v37, -v10
	s_wait_alu 0xfffd
	v_add_co_ci_u32_e32 v20, vcc_lo, s21, v22, vcc_lo
	v_mul_f64_e32 v[23:24], s[22:23], v[23:24]
	v_add_co_u32 v36, vcc_lo, v19, s20
	v_cvt_f32_f16_e32 v10, v10
	v_mul_f64_e32 v[25:26], s[22:23], v[25:26]
	s_wait_alu 0xfffd
	v_add_co_ci_u32_e32 v37, vcc_lo, s21, v20, vcc_lo
	v_mul_f64_e32 v[27:28], s[22:23], v[27:28]
	v_cvt_f64_f32_e32 v[40:41], v10
	v_mul_f64_e32 v[32:33], s[22:23], v[32:33]
	v_mul_f64_e32 v[29:30], s[22:23], v[29:30]
	;; [unrolled: 1-line block ×3, first 2 shown]
	v_cvt_f32_f16_e32 v38, v38
	v_and_or_b32 v10, 0x1ff, v12, v11
	v_and_or_b32 v0, 0x1ff, v1, v0
	v_lshrrev_b32_e32 v11, 8, v12
	v_bfe_u32 v42, v12, 20, 11
	v_lshrrev_b32_e32 v43, 8, v1
	v_cmp_ne_u32_e32 vcc_lo, 0, v10
	v_and_or_b32 v13, 0x1ff, v14, v13
	v_and_or_b32 v15, 0x1ff, v16, v15
	v_bfe_u32 v44, v1, 20, 11
	v_lshrrev_b32_e32 v45, 8, v14
	s_wait_alu 0xfffd
	v_cndmask_b32_e64 v10, 0, 1, vcc_lo
	v_cmp_ne_u32_e32 vcc_lo, 0, v0
	v_bfe_u32 v46, v14, 20, 11
	v_and_or_b32 v6, 0x1ff, v7, v6
	v_lshrrev_b32_e32 v49, 8, v7
	v_bfe_u32 v50, v7, 20, 11
	s_wait_alu 0xfffd
	v_cndmask_b32_e64 v0, 0, 1, vcc_lo
	v_cmp_ne_u32_e32 vcc_lo, 0, v13
	v_and_or_b32 v17, 0x1ff, v18, v17
	v_lshrrev_b32_e32 v51, 8, v18
	v_bfe_u32 v52, v18, 20, 11
	v_and_or_b32 v10, 0xffe, v11, v10
	s_wait_alu 0xfffd
	v_cndmask_b32_e64 v13, 0, 1, vcc_lo
	v_cmp_ne_u32_e32 vcc_lo, 0, v15
	v_and_or_b32 v23, 0x1ff, v24, v23
	v_lshrrev_b32_e32 v53, 8, v24
	v_bfe_u32 v54, v24, 20, 11
	v_and_or_b32 v25, 0x1ff, v26, v25
	;; [unrolled: 7-line block ×3, first 2 shown]
	s_wait_alu 0xfffd
	v_cndmask_b32_e64 v6, 0, 1, vcc_lo
	v_cmp_ne_u32_e32 vcc_lo, 0, v17
	v_lshrrev_b32_e32 v59, 8, v30
	v_bfe_u32 v60, v30, 20, 11
	v_lshrrev_b32_e32 v55, 8, v26
	v_bfe_u32 v56, v26, 20, 11
	s_wait_alu 0xfffd
	v_cndmask_b32_e64 v17, 0, 1, vcc_lo
	v_cmp_ne_u32_e32 vcc_lo, 0, v23
	v_sub_nc_u32_e32 v74, 0x3f1, v60
	v_add_nc_u32_e32 v60, 0xfffffc10, v60
	v_sub_nc_u32_e32 v73, 0x3f1, v58
	v_and_or_b32 v32, 0x1ff, v33, v32
	s_wait_alu 0xfffd
	v_cndmask_b32_e64 v23, 0, 1, vcc_lo
	v_cmp_ne_u32_e32 vcc_lo, 0, v25
	v_sub_nc_u32_e32 v72, 0x3f1, v56
	v_and_or_b32 v34, 0x1ff, v35, v34
	v_sub_nc_u32_e32 v71, 0x3f1, v54
	v_and_or_b32 v23, 0xffe, v53, v23
	s_wait_alu 0xfffd
	v_cndmask_b32_e64 v25, 0, 1, vcc_lo
	v_cmp_ne_u32_e32 vcc_lo, 0, v27
	v_sub_nc_u32_e32 v70, 0x3f1, v52
	v_and_or_b32 v17, 0xffe, v51, v17
	v_lshrrev_b32_e32 v47, 8, v16
	v_and_or_b32 v25, 0xffe, v55, v25
	s_wait_alu 0xfffd
	v_cndmask_b32_e64 v27, 0, 1, vcc_lo
	v_cmp_ne_u32_e32 vcc_lo, 0, v29
	v_bfe_u32 v48, v16, 20, 11
	v_sub_nc_u32_e32 v65, 0x3f1, v42
	v_add_nc_u32_e32 v42, 0xfffffc10, v42
	v_and_or_b32 v27, 0xffe, v57, v27
	s_wait_alu 0xfffd
	v_cndmask_b32_e64 v29, 0, 1, vcc_lo
	v_cmp_ne_u32_e32 vcc_lo, 0, v32
	v_sub_nc_u32_e32 v66, 0x3f1, v44
	v_sub_nc_u32_e32 v69, 0x3f1, v50
	v_and_or_b32 v0, 0xffe, v43, v0
	v_and_or_b32 v29, 0xffe, v59, v29
	s_wait_alu 0xfffd
	v_cndmask_b32_e64 v32, 0, 1, vcc_lo
	v_cmp_ne_u32_e32 vcc_lo, 0, v34
	v_and_or_b32 v6, 0xffe, v49, v6
	v_add_nc_u32_e32 v44, 0xfffffc10, v44
	v_lshl_or_b32 v84, v60, 12, v29
	v_add_nc_u32_e32 v58, 0xfffffc10, v58
	s_wait_alu 0xfffd
	v_cndmask_b32_e64 v34, 0, 1, vcc_lo
	v_cmp_ne_u32_e32 vcc_lo, 0, v10
	v_sub_nc_u32_e32 v67, 0x3f1, v46
	v_sub_nc_u32_e32 v68, 0x3f1, v48
	v_lshl_or_b32 v82, v58, 12, v27
	v_add_nc_u32_e32 v56, 0xfffffc10, v56
	v_med3_i32 v11, v65, 0, 13
	v_med3_i32 v43, v66, 0, 13
	v_and_or_b32 v13, 0xffe, v45, v13
	v_and_or_b32 v15, 0xffe, v47, v15
	v_lshl_or_b32 v80, v56, 12, v25
	v_add_nc_u32_e32 v54, 0xfffffc10, v54
	v_med3_i32 v59, v74, 0, 13
	v_or_b32_e32 v65, 0x1000, v10
	v_lshl_or_b32 v66, v42, 12, v10
	s_wait_alu 0xfffd
	v_cndmask_b32_e64 v10, 0, 1, vcc_lo
	v_lshl_or_b32 v78, v54, 12, v23
	v_add_nc_u32_e32 v52, 0xfffffc10, v52
	v_cmp_ne_u32_e32 vcc_lo, 0, v0
	v_med3_i32 v45, v67, 0, 13
	v_med3_i32 v47, v68, 0, 13
	;; [unrolled: 1-line block ×3, first 2 shown]
	v_lshl_or_b32 v76, v52, 12, v17
	v_add_nc_u32_e32 v50, 0xfffffc10, v50
	v_or_b32_e32 v67, 0x1000, v0
	v_lshl_or_b32 v68, v44, 12, v0
	s_wait_alu 0xfffd
	v_cndmask_b32_e64 v0, 0, 1, vcc_lo
	v_cmp_ne_u32_e32 vcc_lo, 0, v13
	v_lshl_or_b32 v74, v50, 12, v6
	v_add_nc_u32_e32 v48, 0xfffffc10, v48
	v_med3_i32 v49, v69, 0, 13
	v_med3_i32 v51, v70, 0, 13
	v_or_b32_e32 v69, 0x1000, v13
	v_bfe_u32 v62, v33, 20, 11
	v_lshl_or_b32 v72, v48, 12, v15
	v_add_nc_u32_e32 v46, 0xfffffc10, v46
	v_med3_i32 v53, v71, 0, 13
	v_or_b32_e32 v71, 0x1000, v15
	v_lshrrev_b32_e32 v61, 8, v33
	v_sub_nc_u32_e32 v75, 0x3f1, v62
	v_lshl_or_b32 v70, v46, 12, v13
	s_wait_alu 0xfffd
	v_cndmask_b32_e64 v13, 0, 1, vcc_lo
	v_cmp_ne_u32_e32 vcc_lo, 0, v15
	v_med3_i32 v57, v73, 0, 13
	v_or_b32_e32 v73, 0x1000, v6
	v_and_or_b32 v32, 0xffe, v61, v32
	v_med3_i32 v61, v75, 0, 13
	s_wait_alu 0xfffd
	v_cndmask_b32_e64 v15, 0, 1, vcc_lo
	v_cmp_ne_u32_e32 vcc_lo, 0, v6
	v_or_b32_e32 v75, 0x1000, v17
	v_or_b32_e32 v77, 0x1000, v23
	;; [unrolled: 1-line block ×4, first 2 shown]
	s_wait_alu 0xfffd
	v_cndmask_b32_e64 v6, 0, 1, vcc_lo
	v_cmp_ne_u32_e32 vcc_lo, 0, v17
	v_lshrrev_b32_e32 v86, v11, v65
	v_lshrrev_b32_e32 v87, v43, v67
	;; [unrolled: 1-line block ×3, first 2 shown]
	v_lshl_or_b32 v6, v6, 9, 0x7c00
	s_wait_alu 0xfffd
	v_cndmask_b32_e64 v17, 0, 1, vcc_lo
	v_cmp_ne_u32_e32 vcc_lo, 0, v23
	v_lshlrev_b32_e32 v43, v43, v87
	v_lshrrev_b32_e32 v89, v47, v71
	v_lshlrev_b32_e32 v45, v45, v88
	v_lshrrev_b32_e32 v90, v49, v73
	s_wait_alu 0xfffd
	v_cndmask_b32_e64 v23, 0, 1, vcc_lo
	v_cmp_ne_u32_e32 vcc_lo, 0, v25
	v_lshlrev_b32_e32 v47, v47, v89
	v_lshl_or_b32 v0, v0, 9, 0x7c00
	v_lshrrev_b32_e32 v91, v51, v75
	v_lshlrev_b32_e32 v49, v49, v90
	s_wait_alu 0xfffd
	v_cndmask_b32_e64 v25, 0, 1, vcc_lo
	v_cmp_ne_u32_e32 vcc_lo, 0, v27
	v_lshrrev_b32_e32 v92, v53, v77
	v_lshlrev_b32_e32 v51, v51, v91
	v_lshl_or_b32 v10, v10, 9, 0x7c00
	v_lshrrev_b32_e32 v93, v55, v79
	s_wait_alu 0xfffd
	v_cndmask_b32_e64 v27, 0, 1, vcc_lo
	v_lshlrev_b32_e32 v53, v53, v92
	v_or_b32_e32 v83, 0x1000, v29
	v_lshrrev_b32_e32 v94, v57, v81
	v_lshlrev_b32_e32 v55, v55, v93
	v_lshl_or_b32 v27, v27, 9, 0x7c00
	v_lshlrev_b32_e32 v11, v11, v86
	v_or_b32_e32 v85, 0x1000, v32
	v_lshrrev_b32_e32 v95, v59, v83
	v_lshlrev_b32_e32 v57, v57, v94
	v_lshl_or_b32 v17, v17, 9, 0x7c00
	v_cmp_ne_u32_e32 vcc_lo, v11, v65
	v_lshrrev_b32_e32 v96, v61, v85
	v_lshlrev_b32_e32 v59, v59, v95
	v_lshl_or_b32 v13, v13, 9, 0x7c00
	v_lshl_or_b32 v15, v15, 9, 0x7c00
	s_wait_alu 0xfffd
	v_cndmask_b32_e64 v11, 0, 1, vcc_lo
	v_cmp_ne_u32_e32 vcc_lo, v43, v67
	v_lshlrev_b32_e32 v61, v61, v96
	v_cvt_f64_f32_e32 v[38:39], v38
	v_lshrrev_b32_e32 v12, 16, v12
	v_or_b32_e32 v11, v86, v11
	s_wait_alu 0xfffd
	v_cndmask_b32_e64 v43, 0, 1, vcc_lo
	v_cmp_ne_u32_e32 vcc_lo, v45, v69
	v_lshl_or_b32 v23, v23, 9, 0x7c00
	v_lshrrev_b32_e32 v1, 16, v1
	v_lshrrev_b32_e32 v14, 16, v14
	v_or_b32_e32 v43, v87, v43
	s_wait_alu 0xfffd
	v_cndmask_b32_e64 v45, 0, 1, vcc_lo
	v_cmp_ne_u32_e32 vcc_lo, v47, v71
	v_lshrrev_b32_e32 v7, 16, v7
	v_lshl_or_b32 v25, v25, 9, 0x7c00
	v_lshrrev_b32_e32 v16, 16, v16
	v_or_b32_e32 v45, v88, v45
	s_wait_alu 0xfffd
	v_cndmask_b32_e64 v47, 0, 1, vcc_lo
	v_cmp_ne_u32_e32 vcc_lo, v49, v73
	v_lshrrev_b32_e32 v18, 16, v18
	v_lshrrev_b32_e32 v24, 16, v24
	;; [unrolled: 1-line block ×3, first 2 shown]
	v_or_b32_e32 v47, v89, v47
	s_wait_alu 0xfffd
	v_cndmask_b32_e64 v49, 0, 1, vcc_lo
	v_cmp_ne_u32_e32 vcc_lo, v51, v75
	v_lshrrev_b32_e32 v63, 8, v35
	v_bfe_u32 v64, v35, 20, 11
	v_lshrrev_b32_e32 v28, 16, v28
	v_or_b32_e32 v49, v90, v49
	s_wait_alu 0xfffd
	v_cndmask_b32_e64 v51, 0, 1, vcc_lo
	v_cmp_ne_u32_e32 vcc_lo, v53, v77
	s_delay_alu instid0(VALU_DEP_2) | instskip(SKIP_3) | instid1(VALU_DEP_2)
	v_or_b32_e32 v51, v91, v51
	s_wait_alu 0xfffd
	v_cndmask_b32_e64 v53, 0, 1, vcc_lo
	v_cmp_ne_u32_e32 vcc_lo, v55, v79
	v_or_b32_e32 v53, v92, v53
	s_wait_alu 0xfffd
	v_cndmask_b32_e64 v55, 0, 1, vcc_lo
	v_cmp_ne_u32_e32 vcc_lo, v57, v81
	s_delay_alu instid0(VALU_DEP_2) | instskip(SKIP_3) | instid1(VALU_DEP_2)
	v_or_b32_e32 v55, v93, v55
	s_wait_alu 0xfffd
	v_cndmask_b32_e64 v57, 0, 1, vcc_lo
	v_cmp_ne_u32_e32 vcc_lo, v59, v83
	v_or_b32_e32 v57, v94, v57
	s_wait_alu 0xfffd
	v_cndmask_b32_e64 v59, 0, 1, vcc_lo
	v_cmp_ne_u32_e32 vcc_lo, v61, v85
	s_delay_alu instid0(VALU_DEP_2)
	v_or_b32_e32 v59, v95, v59
	s_wait_alu 0xfffd
	v_cndmask_b32_e64 v61, 0, 1, vcc_lo
	v_cmp_gt_i32_e32 vcc_lo, 1, v42
	s_wait_alu 0xfffd
	v_cndmask_b32_e32 v11, v66, v11, vcc_lo
	v_cmp_gt_i32_e32 vcc_lo, 1, v44
	s_delay_alu instid0(VALU_DEP_2)
	v_and_b32_e32 v65, 7, v11
	s_wait_alu 0xfffd
	v_cndmask_b32_e32 v43, v68, v43, vcc_lo
	v_cmp_gt_i32_e32 vcc_lo, 1, v46
	v_lshrrev_b32_e32 v11, 2, v11
	v_cmp_eq_u32_e64 s0, 3, v65
	s_wait_alu 0xfffd
	v_dual_cndmask_b32 v45, v70, v45 :: v_dual_and_b32 v66, 7, v43
	v_cmp_gt_i32_e32 vcc_lo, 1, v48
	v_lshrrev_b32_e32 v43, 2, v43
	s_delay_alu instid0(VALU_DEP_3) | instskip(NEXT) | instid1(VALU_DEP_4)
	v_cmp_lt_i32_e64 s1, 5, v66
	v_and_b32_e32 v67, 7, v45
	s_wait_alu 0xfffd
	v_cndmask_b32_e32 v47, v72, v47, vcc_lo
	v_cmp_gt_i32_e32 vcc_lo, 1, v50
	v_cmp_eq_u32_e64 s2, 3, v66
	v_lshrrev_b32_e32 v45, 2, v45
	v_cmp_lt_i32_e64 s3, 5, v67
	s_wait_alu 0xfffd
	v_dual_cndmask_b32 v49, v74, v49 :: v_dual_and_b32 v68, 7, v47
	v_cmp_gt_i32_e32 vcc_lo, 1, v52
	v_cmp_eq_u32_e64 s4, 3, v67
	v_lshrrev_b32_e32 v47, 2, v47
	s_delay_alu instid0(VALU_DEP_4)
	v_cmp_lt_i32_e64 s5, 5, v68
	v_and_b32_e32 v69, 7, v49
	s_wait_alu 0xfffd
	v_cndmask_b32_e32 v51, v76, v51, vcc_lo
	v_cmp_gt_i32_e32 vcc_lo, 1, v54
	v_cmp_eq_u32_e64 s6, 3, v68
	v_lshrrev_b32_e32 v49, 2, v49
	v_cmp_lt_i32_e64 s7, 5, v69
	s_wait_alu 0xfffd
	v_dual_cndmask_b32 v53, v78, v53 :: v_dual_and_b32 v70, 7, v51
	v_cmp_gt_i32_e32 vcc_lo, 1, v56
	v_cmp_eq_u32_e64 s8, 3, v69
	v_lshrrev_b32_e32 v51, 2, v51
	s_delay_alu instid0(VALU_DEP_4)
	v_cmp_lt_i32_e64 s9, 5, v70
	v_and_b32_e32 v71, 7, v53
	s_wait_alu 0xfffd
	v_cndmask_b32_e32 v55, v80, v55, vcc_lo
	v_cmp_gt_i32_e32 vcc_lo, 1, v58
	v_cmp_eq_u32_e64 s10, 3, v70
	v_lshrrev_b32_e32 v53, 2, v53
	v_cmp_lt_i32_e64 s11, 5, v71
	s_wait_alu 0xfffd
	v_dual_cndmask_b32 v57, v82, v57 :: v_dual_and_b32 v72, 7, v55
	v_cmp_gt_i32_e32 vcc_lo, 1, v60
	v_cmp_eq_u32_e64 s12, 3, v71
	v_lshrrev_b32_e32 v55, 2, v55
	s_delay_alu instid0(VALU_DEP_4)
	v_cmp_lt_i32_e64 s13, 5, v72
	v_and_b32_e32 v73, 7, v57
	s_wait_alu 0xfffd
	v_cndmask_b32_e32 v59, v84, v59, vcc_lo
	v_cmp_lt_i32_e32 vcc_lo, 5, v65
	v_cmp_eq_u32_e64 s14, 3, v72
	v_lshrrev_b32_e32 v57, 2, v57
	v_cmp_lt_i32_e64 s15, 5, v73
	v_and_b32_e32 v74, 7, v59
	s_or_b32 vcc_lo, s0, vcc_lo
	v_cmp_eq_u32_e64 s16, 3, v73
	s_wait_alu 0xfffe
	v_add_co_ci_u32_e32 v11, vcc_lo, 0, v11, vcc_lo
	s_or_b32 vcc_lo, s2, s1
	v_cmp_lt_i32_e64 s17, 5, v74
	s_wait_alu 0xfffe
	v_add_co_ci_u32_e32 v43, vcc_lo, 0, v43, vcc_lo
	s_or_b32 vcc_lo, s4, s3
	v_cmp_eq_u32_e64 s18, 3, v74
	s_wait_alu 0xfffe
	v_add_co_ci_u32_e32 v45, vcc_lo, 0, v45, vcc_lo
	s_or_b32 vcc_lo, s6, s5
	v_lshrrev_b32_e32 v59, 2, v59
	s_wait_alu 0xfffe
	v_add_co_ci_u32_e32 v47, vcc_lo, 0, v47, vcc_lo
	s_or_b32 vcc_lo, s8, s7
	s_wait_alu 0xfffe
	v_add_co_ci_u32_e32 v49, vcc_lo, 0, v49, vcc_lo
	s_or_b32 vcc_lo, s10, s9
	;; [unrolled: 3-line block ×6, first 2 shown]
	s_wait_alu 0xfffe
	v_add_co_ci_u32_e32 v59, vcc_lo, 0, v59, vcc_lo
	v_cmp_gt_i32_e32 vcc_lo, 31, v42
	s_wait_alu 0xfffd
	v_cndmask_b32_e32 v11, 0x7c00, v11, vcc_lo
	v_cmp_gt_i32_e32 vcc_lo, 31, v44
	s_wait_alu 0xfffd
	v_cndmask_b32_e32 v43, 0x7c00, v43, vcc_lo
	;; [unrolled: 3-line block ×10, first 2 shown]
	v_cmp_eq_u32_e32 vcc_lo, 0x40f, v42
	s_wait_alu 0xfffd
	v_cndmask_b32_e32 v10, v11, v10, vcc_lo
	v_cmp_eq_u32_e32 vcc_lo, 0x40f, v44
	s_delay_alu instid0(VALU_DEP_2) | instskip(SKIP_3) | instid1(VALU_DEP_3)
	v_and_or_b32 v10, 0x8000, v12, v10
	s_wait_alu 0xfffd
	v_cndmask_b32_e32 v0, v43, v0, vcc_lo
	v_cmp_eq_u32_e32 vcc_lo, 0x40f, v46
	v_and_b32_e32 v10, 0xffff, v10
	s_delay_alu instid0(VALU_DEP_3)
	v_and_or_b32 v0, 0x8000, v1, v0
	s_wait_alu 0xfffd
	v_cndmask_b32_e32 v11, v45, v13, vcc_lo
	v_cmp_eq_u32_e32 vcc_lo, 0x40f, v48
	v_add_nc_u32_e32 v62, 0xfffffc10, v62
	v_lshl_or_b32 v0, v0, 16, v10
	s_delay_alu instid0(VALU_DEP_4) | instskip(SKIP_3) | instid1(VALU_DEP_3)
	v_and_or_b32 v1, 0x8000, v14, v11
	s_wait_alu 0xfffd
	v_cndmask_b32_e32 v13, v47, v15, vcc_lo
	v_cmp_eq_u32_e32 vcc_lo, 0x40f, v50
	v_and_b32_e32 v1, 0xffff, v1
	s_delay_alu instid0(VALU_DEP_3) | instskip(SKIP_3) | instid1(VALU_DEP_3)
	v_and_or_b32 v11, 0x8000, v16, v13
	s_wait_alu 0xfffd
	v_cndmask_b32_e32 v6, v49, v6, vcc_lo
	v_cmp_eq_u32_e32 vcc_lo, 0x40f, v52
	v_lshl_or_b32 v1, v11, 16, v1
	s_delay_alu instid0(VALU_DEP_3) | instskip(SKIP_3) | instid1(VALU_DEP_3)
	v_and_or_b32 v6, 0x8000, v7, v6
	s_wait_alu 0xfffd
	v_cndmask_b32_e32 v15, v51, v17, vcc_lo
	v_cmp_eq_u32_e32 vcc_lo, 0x40f, v54
	v_and_b32_e32 v6, 0xffff, v6
	s_delay_alu instid0(VALU_DEP_3)
	v_and_or_b32 v7, 0x8000, v18, v15
	s_wait_alu 0xfffd
	v_cndmask_b32_e32 v17, v53, v23, vcc_lo
	v_cmp_eq_u32_e32 vcc_lo, 0x40f, v56
	v_lshrrev_b32_e32 v15, 16, v30
	v_lshl_or_b32 v6, v7, 16, v6
	s_delay_alu instid0(VALU_DEP_4)
	v_and_or_b32 v12, 0x8000, v24, v17
	s_wait_alu 0xfffd
	v_cndmask_b32_e32 v23, v55, v25, vcc_lo
	v_cmp_eq_u32_e32 vcc_lo, 0x40f, v58
	s_clause 0x2
	global_store_b32 v[8:9], v0, off
	global_store_b32 v[21:22], v1, off
	;; [unrolled: 1-line block ×3, first 2 shown]
	v_or_b32_e32 v1, v96, v61
	v_lshl_or_b32 v6, v62, 12, v32
	v_and_or_b32 v13, 0x8000, v26, v23
	s_wait_alu 0xfffd
	v_cndmask_b32_e32 v10, v57, v27, vcc_lo
	v_cmp_ne_u32_e32 vcc_lo, 0, v29
	v_sub_nc_u32_e32 v7, 0x3f1, v64
	s_wait_loadcnt 0x3
	v_lshrrev_b32_e32 v19, 16, v3
	v_lshrrev_b32_e32 v21, 16, v33
	v_and_or_b32 v10, 0x8000, v28, v10
	s_wait_alu 0xfffd
	v_cndmask_b32_e64 v0, 0, 1, vcc_lo
	v_cmp_gt_i32_e32 vcc_lo, 1, v62
	v_and_b32_e32 v12, 0xffff, v12
	v_med3_i32 v14, v7, 0, 13
	s_delay_alu instid0(VALU_DEP_4)
	v_lshl_or_b32 v8, v0, 9, 0x7c00
	s_wait_alu 0xfffd
	v_cndmask_b32_e32 v9, v6, v1, vcc_lo
	v_lshl_or_b32 v11, v13, 16, v12
	v_and_or_b32 v12, 0xffe, v63, v34
	v_cmp_eq_u32_e32 vcc_lo, 0x40f, v60
	v_add_nc_u32_e32 v6, 0xe00, v31
	v_mul_f64_e32 v[0:1], s[22:23], v[38:39]
	v_and_b32_e32 v17, 7, v9
	v_or_b32_e32 v13, 0x1000, v12
	s_wait_alu 0xfffd
	v_cndmask_b32_e32 v8, v59, v8, vcc_lo
	ds_load_2addr_b32 v[6:7], v6 offset0:84 offset1:224
	global_store_b32 v[36:37], v11, off
	v_cmp_lt_i32_e32 vcc_lo, 5, v17
	v_lshrrev_b32_e32 v16, v14, v13
	v_cmp_eq_u32_e64 s0, 3, v17
	s_delay_alu instid0(VALU_DEP_2) | instskip(SKIP_2) | instid1(VALU_DEP_4)
	v_lshlrev_b32_e32 v11, v14, v16
	v_and_or_b32 v14, 0x8000, v15, v8
	v_lshrrev_b32_e32 v15, 2, v9
	s_or_b32 vcc_lo, s0, vcc_lo
	v_mul_f64_e32 v[8:9], s[22:23], v[40:41]
	v_cmp_ne_u32_e64 s1, v11, v13
	v_add_nc_u32_e32 v13, 0xfffffc10, v64
	s_wait_alu 0xfffe
	v_add_co_ci_u32_e32 v15, vcc_lo, 0, v15, vcc_lo
	v_cmp_ne_u32_e32 vcc_lo, 0, v32
	s_wait_alu 0xf1ff
	v_cndmask_b32_e64 v11, 0, 1, s1
	s_wait_dscnt 0x0
	v_lshrrev_b32_e32 v18, 16, v6
	s_wait_alu 0xfffd
	v_cndmask_b32_e64 v17, 0, 1, vcc_lo
	v_or_b32_e32 v11, v16, v11
	v_lshl_or_b32 v16, v13, 12, v12
	v_cmp_gt_i32_e32 vcc_lo, 1, v13
	s_wait_alu 0xfffd
	s_delay_alu instid0(VALU_DEP_2)
	v_cndmask_b32_e32 v16, v16, v11, vcc_lo
	v_cmp_gt_i32_e32 vcc_lo, 31, v62
	v_and_or_b32 v0, 0x1ff, v1, v0
	v_bfe_u32 v22, v1, 20, 11
	s_wait_alu 0xfffd
	v_cndmask_b32_e32 v11, 0x7c00, v15, vcc_lo
	v_lshl_or_b32 v15, v17, 9, 0x7c00
	v_mul_f16_e32 v17, v18, v19
	v_cmp_eq_u32_e32 vcc_lo, 0x40f, v62
	v_and_b32_e32 v20, 0xffff, v10
	v_and_b32_e32 v10, 7, v16
	v_cmp_ne_u32_e64 s1, 0, v0
	v_fmac_f16_e32 v17, v6, v3
	s_wait_alu 0xfffd
	v_cndmask_b32_e32 v15, v11, v15, vcc_lo
	v_lshrrev_b32_e32 v16, 2, v16
	v_cmp_lt_i32_e32 vcc_lo, 5, v10
	v_cmp_eq_u32_e64 s0, 3, v10
	v_cvt_f32_f16_e32 v10, v17
	s_wait_alu 0xf1ff
	v_cndmask_b32_e64 v0, 0, 1, s1
	v_lshrrev_b32_e32 v17, 8, v1
	v_and_or_b32 v15, 0x8000, v21, v15
	s_or_b32 vcc_lo, s0, vcc_lo
	v_cvt_f64_f32_e32 v[10:11], v10
	s_wait_alu 0xfffe
	v_add_co_ci_u32_e32 v16, vcc_lo, 0, v16, vcc_lo
	v_and_or_b32 v0, 0xffe, v17, v0
	v_sub_nc_u32_e32 v17, 0x3f1, v22
	v_cmp_gt_i32_e32 vcc_lo, 31, v13
	v_and_or_b32 v8, 0x1ff, v9, v8
	v_mul_f16_e32 v6, v6, v19
	v_or_b32_e32 v21, 0x1000, v0
	v_med3_i32 v17, v17, 0, 13
	s_wait_alu 0xfffd
	v_cndmask_b32_e32 v16, 0x7c00, v16, vcc_lo
	v_cmp_ne_u32_e32 vcc_lo, 0, v12
	v_fma_f16 v3, v3, v18, -v6
	v_lshrrev_b32_e32 v24, 8, v9
	v_lshrrev_b32_e32 v23, v17, v21
	v_bfe_u32 v19, v9, 20, 11
	s_wait_alu 0xfffd
	v_cndmask_b32_e64 v12, 0, 1, vcc_lo
	v_cmp_ne_u32_e32 vcc_lo, 0, v8
	v_cvt_f32_f16_e32 v3, v3
	v_lshlrev_b32_e32 v17, v17, v23
	v_sub_nc_u32_e32 v6, 0x3f1, v19
	v_lshl_or_b32 v12, v12, 9, 0x7c00
	s_wait_alu 0xfffd
	v_cndmask_b32_e64 v8, 0, 1, vcc_lo
	v_lshl_or_b32 v20, v14, 16, v20
	v_cmp_ne_u32_e32 vcc_lo, v17, v21
	v_med3_i32 v6, v6, 0, 13
	v_add_nc_u32_e32 v19, 0xfffffc10, v19
	v_and_or_b32 v8, 0xffe, v24, v8
	s_wait_loadcnt 0x2
	v_lshrrev_b32_e32 v24, 16, v2
	s_wait_alu 0xfffd
	v_cndmask_b32_e64 v17, 0, 1, vcc_lo
	v_cmp_eq_u32_e32 vcc_lo, 0x40f, v13
	v_cmp_gt_i32_e64 s1, 1, v19
	v_or_b32_e32 v21, 0x1000, v8
	s_wait_alu 0xfffd
	v_cndmask_b32_e32 v16, v16, v12, vcc_lo
	v_cvt_f64_f32_e32 v[12:13], v3
	v_or_b32_e32 v3, v23, v17
	v_mul_f64_e32 v[10:11], s[22:23], v[10:11]
	v_add_nc_u32_e32 v18, 0xfffffc10, v22
	v_lshrrev_b32_e32 v22, v6, v21
	v_lshrrev_b32_e32 v23, 16, v35
	s_delay_alu instid0(VALU_DEP_3) | instskip(SKIP_1) | instid1(VALU_DEP_4)
	v_lshl_or_b32 v17, v18, 12, v0
	v_cmp_gt_i32_e32 vcc_lo, 1, v18
	v_lshlrev_b32_e32 v6, v6, v22
	s_delay_alu instid0(VALU_DEP_4) | instskip(SKIP_2) | instid1(VALU_DEP_3)
	v_and_or_b32 v16, 0x8000, v23, v16
	s_wait_alu 0xfffd
	v_cndmask_b32_e32 v3, v17, v3, vcc_lo
	v_cmp_ne_u32_e32 vcc_lo, v6, v21
	v_and_b32_e32 v17, 0xffff, v15
	s_delay_alu instid0(VALU_DEP_3)
	v_and_b32_e32 v23, 7, v3
	s_wait_alu 0xfffd
	v_cndmask_b32_e64 v6, 0, 1, vcc_lo
	v_add_co_u32 v14, vcc_lo, v36, s20
	s_wait_alu 0xfffd
	v_add_co_ci_u32_e32 v15, vcc_lo, s21, v37, vcc_lo
	v_cmp_lt_i32_e32 vcc_lo, 5, v23
	v_cmp_eq_u32_e64 s0, 3, v23
	v_lshrrev_b32_e32 v3, 2, v3
	v_lshl_or_b32 v21, v16, 16, v17
	v_or_b32_e32 v6, v22, v6
	v_lshl_or_b32 v16, v19, 12, v8
	v_lshrrev_b32_e32 v22, 16, v7
	s_or_b32 vcc_lo, s0, vcc_lo
	s_wait_alu 0xfffe
	v_add_co_ci_u32_e32 v3, vcc_lo, 0, v3, vcc_lo
	v_cmp_ne_u32_e32 vcc_lo, 0, v0
	v_cndmask_b32_e64 v6, v16, v6, s1
	v_mul_f16_e32 v16, v22, v24
	v_mul_f64_e32 v[12:13], s[22:23], v[12:13]
	v_and_or_b32 v10, 0x1ff, v11, v10
	s_wait_alu 0xfffd
	v_cndmask_b32_e64 v0, 0, 1, vcc_lo
	v_cmp_gt_i32_e32 vcc_lo, 31, v18
	v_fmac_f16_e32 v16, v7, v2
	v_and_b32_e32 v17, 7, v6
	v_cmp_ne_u32_e64 s1, 0, v10
	v_lshl_or_b32 v0, v0, 9, 0x7c00
	s_wait_alu 0xfffd
	v_cndmask_b32_e32 v3, 0x7c00, v3, vcc_lo
	v_cvt_f32_f16_e32 v16, v16
	v_cmp_lt_i32_e32 vcc_lo, 5, v17
	s_wait_alu 0xf1ff
	v_cndmask_b32_e64 v10, 0, 1, s1
	v_cmp_eq_u32_e64 s1, 0x40f, v18
	v_cmp_eq_u32_e64 s0, 3, v17
	v_lshrrev_b32_e32 v23, 8, v11
	v_bfe_u32 v25, v11, 20, 11
	v_cvt_f64_f32_e32 v[16:17], v16
	s_wait_alu 0xf1ff
	v_cndmask_b32_e64 v3, v3, v0, s1
	v_lshrrev_b32_e32 v0, 2, v6
	s_or_b32 vcc_lo, s0, vcc_lo
	v_and_or_b32 v10, 0xffe, v23, v10
	v_sub_nc_u32_e32 v6, 0x3f1, v25
	v_lshrrev_b32_e32 v23, 16, v1
	s_wait_alu 0xfffe
	v_add_co_ci_u32_e32 v0, vcc_lo, 0, v0, vcc_lo
	v_cmp_ne_u32_e32 vcc_lo, 0, v8
	v_or_b32_e32 v18, 0x1000, v10
	v_med3_i32 v6, v6, 0, 13
	v_and_or_b32 v23, 0x8000, v23, v3
	v_lshrrev_b32_e32 v11, 16, v11
	s_wait_alu 0xfffd
	v_cndmask_b32_e64 v8, 0, 1, vcc_lo
	v_cmp_gt_i32_e32 vcc_lo, 31, v19
	v_lshrrev_b32_e32 v27, v6, v18
	s_delay_alu instid0(VALU_DEP_3)
	v_lshl_or_b32 v8, v8, 9, 0x7c00
	s_wait_alu 0xfffd
	v_cndmask_b32_e32 v26, 0x7c00, v0, vcc_lo
	v_add_co_u32 v0, vcc_lo, v14, s20
	s_wait_alu 0xfffd
	v_add_co_ci_u32_e32 v1, vcc_lo, s21, v15, vcc_lo
	v_lshlrev_b32_e32 v3, v6, v27
	v_cmp_eq_u32_e32 vcc_lo, 0x40f, v19
	v_and_or_b32 v6, 0x1ff, v13, v12
	v_lshrrev_b32_e32 v12, 16, v9
	s_wait_alu 0xfffd
	v_cndmask_b32_e32 v19, v26, v8, vcc_lo
	v_cmp_ne_u32_e32 vcc_lo, v3, v18
	v_mul_f16_e32 v3, v7, v24
	v_lshrrev_b32_e32 v18, 8, v13
	v_bfe_u32 v24, v13, 20, 11
	v_and_or_b32 v12, 0x8000, v12, v19
	s_wait_alu 0xfffd
	v_cndmask_b32_e64 v8, 0, 1, vcc_lo
	v_cmp_ne_u32_e32 vcc_lo, 0, v6
	v_mul_f64_e32 v[6:7], s[22:23], v[16:17]
	v_fma_f16 v2, v2, v22, -v3
	v_add_nc_u32_e32 v3, 0x1200, v31
	v_or_b32_e32 v22, v27, v8
	s_wait_alu 0xfffd
	v_cndmask_b32_e64 v9, 0, 1, vcc_lo
	v_add_nc_u32_e32 v16, 0xfffffc10, v25
	v_lshrrev_b32_e32 v13, 16, v13
	s_delay_alu instid0(VALU_DEP_3) | instskip(SKIP_1) | instid1(VALU_DEP_4)
	v_and_or_b32 v17, 0xffe, v18, v9
	v_sub_nc_u32_e32 v9, 0x3f1, v24
	v_lshl_or_b32 v25, v16, 12, v10
	v_cmp_gt_i32_e32 vcc_lo, 1, v16
	v_cvt_f32_f16_e32 v18, v2
	v_or_b32_e32 v26, 0x1000, v17
	v_med3_i32 v27, v9, 0, 13
	ds_load_2addr_b32 v[2:3], v3 offset0:108 offset1:248
	s_wait_alu 0xfffd
	v_cndmask_b32_e32 v19, v25, v22, vcc_lo
	global_store_b32 v[14:15], v20, off
	global_store_b32 v[0:1], v21, off
	v_cvt_f64_f32_e32 v[8:9], v18
	v_lshrrev_b32_e32 v22, v27, v26
	v_add_co_u32 v0, vcc_lo, v0, s20
	s_wait_alu 0xfffd
	v_add_co_ci_u32_e32 v1, vcc_lo, s21, v1, vcc_lo
	s_delay_alu instid0(VALU_DEP_3) | instskip(SKIP_3) | instid1(VALU_DEP_3)
	v_lshlrev_b32_e32 v14, v27, v22
	s_wait_loadcnt 0x1
	v_lshrrev_b32_e32 v21, 16, v4
	v_cmp_eq_u32_e64 s1, 0x40f, v16
	v_cmp_ne_u32_e64 s0, v14, v26
	s_wait_alu 0xf1ff
	s_delay_alu instid0(VALU_DEP_1) | instskip(SKIP_3) | instid1(VALU_DEP_3)
	v_cndmask_b32_e64 v14, 0, 1, s0
	s_wait_dscnt 0x0
	v_lshrrev_b32_e32 v20, 16, v2
	v_and_or_b32 v6, 0x1ff, v7, v6
	v_or_b32_e32 v14, v22, v14
	v_and_b32_e32 v18, 0xffff, v23
	v_add_nc_u32_e32 v23, 0xfffffc10, v24
	v_mul_f16_e32 v15, v20, v21
	v_lshrrev_b32_e32 v22, 8, v7
	v_bfe_u32 v24, v7, 20, 11
	v_lshl_or_b32 v18, v12, 16, v18
	v_and_b32_e32 v12, 7, v19
	v_fmac_f16_e32 v15, v2, v4
	v_mul_f16_e32 v2, v2, v21
	s_delay_alu instid0(VALU_DEP_3)
	v_cmp_lt_i32_e32 vcc_lo, 5, v12
	v_cmp_eq_u32_e64 s0, 3, v12
	v_lshrrev_b32_e32 v12, 2, v19
	v_lshl_or_b32 v19, v23, 12, v17
	v_cvt_f32_f16_e32 v15, v15
	v_mul_f64_e32 v[8:9], s[22:23], v[8:9]
	s_or_b32 vcc_lo, s0, vcc_lo
	v_fma_f16 v2, v4, v20, -v2
	s_wait_alu 0xfffe
	v_add_co_ci_u32_e32 v12, vcc_lo, 0, v12, vcc_lo
	v_cmp_gt_i32_e32 vcc_lo, 1, v23
	s_delay_alu instid0(VALU_DEP_3) | instskip(SKIP_4) | instid1(VALU_DEP_3)
	v_cvt_f32_f16_e32 v2, v2
	s_wait_alu 0xfffd
	v_cndmask_b32_e32 v19, v19, v14, vcc_lo
	v_cmp_ne_u32_e32 vcc_lo, 0, v6
	v_cvt_f64_f32_e32 v[14:15], v15
	v_and_b32_e32 v25, 7, v19
	s_wait_alu 0xfffd
	v_cndmask_b32_e64 v6, 0, 1, vcc_lo
	v_cmp_ne_u32_e32 vcc_lo, 0, v10
	v_lshrrev_b32_e32 v19, 2, v19
	v_cmp_eq_u32_e64 s0, 3, v25
	s_delay_alu instid0(VALU_DEP_4)
	v_and_or_b32 v6, 0xffe, v22, v6
	s_wait_alu 0xfffd
	v_cndmask_b32_e64 v10, 0, 1, vcc_lo
	v_cmp_gt_i32_e32 vcc_lo, 31, v16
	v_sub_nc_u32_e32 v22, 0x3f1, v24
	v_add_nc_u32_e32 v24, 0xfffffc10, v24
	v_or_b32_e32 v26, 0x1000, v6
	v_lshl_or_b32 v10, v10, 9, 0x7c00
	s_wait_alu 0xfffd
	v_cndmask_b32_e32 v12, 0x7c00, v12, vcc_lo
	v_cmp_lt_i32_e32 vcc_lo, 5, v25
	v_med3_i32 v22, v22, 0, 13
	s_delay_alu instid0(VALU_DEP_3) | instskip(SKIP_1) | instid1(VALU_DEP_2)
	v_cndmask_b32_e64 v10, v12, v10, s1
	s_or_b32 vcc_lo, s0, vcc_lo
	v_lshrrev_b32_e32 v12, v22, v26
	s_wait_alu 0xfffe
	v_add_co_ci_u32_e32 v16, vcc_lo, 0, v19, vcc_lo
	v_cmp_ne_u32_e32 vcc_lo, 0, v17
	v_and_or_b32 v8, 0x1ff, v9, v8
	v_lshlrev_b32_e32 v19, v22, v12
	v_and_or_b32 v22, 0x8000, v11, v10
	s_wait_alu 0xfffd
	v_cndmask_b32_e64 v17, 0, 1, vcc_lo
	v_cmp_gt_i32_e32 vcc_lo, 31, v23
	s_delay_alu instid0(VALU_DEP_3) | instskip(NEXT) | instid1(VALU_DEP_3)
	v_and_b32_e32 v20, 0xffff, v22
	v_lshl_or_b32 v17, v17, 9, 0x7c00
	s_wait_alu 0xfffd
	v_cndmask_b32_e32 v16, 0x7c00, v16, vcc_lo
	v_cmp_ne_u32_e32 vcc_lo, v19, v26
	v_mul_f64_e32 v[10:11], s[22:23], v[14:15]
	s_wait_alu 0xfffd
	v_cndmask_b32_e64 v19, 0, 1, vcc_lo
	v_cmp_eq_u32_e32 vcc_lo, 0x40f, v23
	s_delay_alu instid0(VALU_DEP_2)
	v_or_b32_e32 v12, v12, v19
	s_wait_alu 0xfffd
	v_cndmask_b32_e32 v16, v16, v17, vcc_lo
	v_lshl_or_b32 v17, v24, 12, v6
	v_cmp_gt_i32_e32 vcc_lo, 1, v24
	s_wait_loadcnt 0x0
	v_lshrrev_b32_e32 v19, 16, v5
	v_and_or_b32 v14, 0x8000, v13, v16
	v_lshrrev_b32_e32 v16, 16, v3
	s_wait_alu 0xfffd
	v_cndmask_b32_e32 v4, v17, v12, vcc_lo
	v_cmp_ne_u32_e32 vcc_lo, 0, v8
	v_lshrrev_b32_e32 v12, 8, v9
	v_bfe_u32 v17, v9, 20, 11
	v_mul_f16_e32 v22, v16, v19
	v_and_b32_e32 v15, 7, v4
	s_wait_alu 0xfffd
	v_cndmask_b32_e64 v8, 0, 1, vcc_lo
	v_lshrrev_b32_e32 v4, 2, v4
	v_lshl_or_b32 v20, v14, 16, v20
	v_fmac_f16_e32 v22, v3, v5
	v_cmp_lt_i32_e32 vcc_lo, 5, v15
	v_and_or_b32 v8, 0xffe, v12, v8
	v_cvt_f64_f32_e32 v[12:13], v2
	v_sub_nc_u32_e32 v2, 0x3f1, v17
	v_cmp_eq_u32_e64 s0, 3, v15
	v_cvt_f32_f16_e32 v14, v22
	v_or_b32_e32 v21, 0x1000, v8
	v_mul_f16_e32 v3, v3, v19
	v_med3_i32 v2, v2, 0, 13
	s_or_b32 vcc_lo, s0, vcc_lo
	v_cvt_f64_f32_e32 v[14:15], v14
	s_wait_alu 0xfffe
	v_add_co_ci_u32_e32 v4, vcc_lo, 0, v4, vcc_lo
	v_lshrrev_b32_e32 v23, v2, v21
	v_cmp_ne_u32_e32 vcc_lo, 0, v6
	v_fma_f16 v5, v5, v16, -v3
	v_lshrrev_b32_e32 v9, 16, v9
	s_delay_alu instid0(VALU_DEP_4) | instskip(SKIP_4) | instid1(VALU_DEP_3)
	v_lshlrev_b32_e32 v2, v2, v23
	s_wait_alu 0xfffd
	v_cndmask_b32_e64 v6, 0, 1, vcc_lo
	v_cmp_gt_i32_e32 vcc_lo, 31, v24
	v_cvt_f32_f16_e32 v5, v5
	v_lshl_or_b32 v6, v6, 9, 0x7c00
	s_wait_alu 0xfffd
	v_cndmask_b32_e32 v22, 0x7c00, v4, vcc_lo
	v_and_or_b32 v4, 0x1ff, v11, v10
	v_cmp_ne_u32_e32 vcc_lo, v2, v21
	v_add_nc_u32_e32 v10, 0xfffffc10, v17
	v_lshrrev_b32_e32 v17, 8, v11
	v_bfe_u32 v21, v11, 20, 11
	v_lshrrev_b32_e32 v11, 16, v11
	s_wait_alu 0xfffd
	v_cndmask_b32_e64 v2, 0, 1, vcc_lo
	v_cmp_ne_u32_e32 vcc_lo, 0, v4
	v_lshl_or_b32 v16, v10, 12, v8
	s_delay_alu instid0(VALU_DEP_3) | instskip(SKIP_4) | instid1(VALU_DEP_3)
	v_or_b32_e32 v19, v23, v2
	s_wait_alu 0xfffd
	v_cndmask_b32_e64 v4, 0, 1, vcc_lo
	v_cmp_gt_i32_e32 vcc_lo, 1, v10
	v_mul_f64_e32 v[2:3], s[22:23], v[12:13]
	v_and_or_b32 v17, 0xffe, v17, v4
	v_sub_nc_u32_e32 v4, 0x3f1, v21
	s_wait_alu 0xfffd
	v_cndmask_b32_e32 v12, v16, v19, vcc_lo
	v_cmp_eq_u32_e32 vcc_lo, 0x40f, v24
	v_add_nc_u32_e32 v21, 0xfffffc10, v21
	v_or_b32_e32 v13, 0x1000, v17
	v_med3_i32 v16, v4, 0, 13
	v_and_b32_e32 v23, 7, v12
	v_cvt_f64_f32_e32 v[4:5], v5
	s_wait_alu 0xfffd
	v_cndmask_b32_e32 v19, v22, v6, vcc_lo
	v_lshrrev_b32_e32 v22, 16, v7
	v_lshrrev_b32_e32 v24, v16, v13
	v_add_co_u32 v6, vcc_lo, v0, s20
	s_wait_alu 0xfffd
	v_add_co_ci_u32_e32 v7, vcc_lo, s21, v1, vcc_lo
	v_cmp_lt_i32_e32 vcc_lo, 5, v23
	v_cmp_eq_u32_e64 s0, 3, v23
	v_lshlrev_b32_e32 v16, v16, v24
	v_and_or_b32 v19, 0x8000, v22, v19
	v_lshrrev_b32_e32 v22, 2, v12
	s_delay_alu instid0(VALU_DEP_4) | instskip(NEXT) | instid1(VALU_DEP_3)
	s_or_b32 vcc_lo, s0, vcc_lo
	v_cmp_ne_u32_e64 s1, v16, v13
	v_mul_f64_e32 v[12:13], s[22:23], v[14:15]
	s_wait_alu 0xfffe
	v_add_co_ci_u32_e32 v14, vcc_lo, 0, v22, vcc_lo
	v_cmp_ne_u32_e32 vcc_lo, 0, v8
	s_wait_alu 0xf1ff
	v_cndmask_b32_e64 v16, 0, 1, s1
	s_wait_alu 0xfffd
	v_cndmask_b32_e64 v8, 0, 1, vcc_lo
	v_cmp_gt_i32_e32 vcc_lo, 31, v10
	s_delay_alu instid0(VALU_DEP_3)
	v_or_b32_e32 v15, v24, v16
	v_lshl_or_b32 v16, v21, 12, v17
	v_and_or_b32 v2, 0x1ff, v3, v2
	v_lshl_or_b32 v8, v8, 9, 0x7c00
	s_wait_alu 0xfffd
	v_cndmask_b32_e32 v14, 0x7c00, v14, vcc_lo
	v_cmp_gt_i32_e32 vcc_lo, 1, v21
	s_wait_alu 0xfffd
	v_cndmask_b32_e32 v15, v16, v15, vcc_lo
	v_cmp_eq_u32_e32 vcc_lo, 0x40f, v10
	v_mul_f64_e32 v[4:5], s[22:23], v[4:5]
	v_bfe_u32 v16, v3, 20, 11
	s_delay_alu instid0(VALU_DEP_4)
	v_and_b32_e32 v10, 7, v15
	s_wait_alu 0xfffd
	v_cndmask_b32_e32 v8, v14, v8, vcc_lo
	v_cmp_ne_u32_e32 vcc_lo, 0, v2
	v_lshrrev_b32_e32 v14, 8, v3
	v_lshrrev_b32_e32 v3, 16, v3
	v_cmp_eq_u32_e64 s0, 3, v10
	v_and_or_b32 v8, 0x8000, v9, v8
	v_and_b32_e32 v9, 0xffff, v19
	s_wait_alu 0xfffd
	v_cndmask_b32_e64 v2, 0, 1, vcc_lo
	v_cmp_lt_i32_e32 vcc_lo, 5, v10
	s_delay_alu instid0(VALU_DEP_3) | instskip(SKIP_1) | instid1(VALU_DEP_4)
	v_lshl_or_b32 v10, v8, 16, v9
	v_lshrrev_b32_e32 v8, 2, v15
	v_and_or_b32 v2, 0xffe, v14, v2
	v_sub_nc_u32_e32 v14, 0x3f1, v16
	s_or_b32 vcc_lo, s0, vcc_lo
	v_and_or_b32 v12, 0x1ff, v13, v12
	s_wait_alu 0xfffe
	v_add_co_ci_u32_e32 v8, vcc_lo, 0, v8, vcc_lo
	v_or_b32_e32 v9, 0x1000, v2
	v_med3_i32 v14, v14, 0, 13
	v_cmp_ne_u32_e32 vcc_lo, 0, v17
	v_lshrrev_b32_e32 v19, 8, v13
	v_bfe_u32 v22, v13, 20, 11
	s_delay_alu instid0(VALU_DEP_4) | instskip(SKIP_3) | instid1(VALU_DEP_3)
	v_lshrrev_b32_e32 v17, v14, v9
	s_wait_alu 0xfffd
	v_cndmask_b32_e64 v15, 0, 1, vcc_lo
	v_cmp_gt_i32_e32 vcc_lo, 31, v21
	v_lshlrev_b32_e32 v14, v14, v17
	s_delay_alu instid0(VALU_DEP_3)
	v_lshl_or_b32 v15, v15, 9, 0x7c00
	s_wait_alu 0xfffd
	v_cndmask_b32_e32 v8, 0x7c00, v8, vcc_lo
	v_cmp_ne_u32_e32 vcc_lo, 0, v12
	v_and_or_b32 v4, 0x1ff, v5, v4
	s_wait_alu 0xfffd
	v_cndmask_b32_e64 v12, 0, 1, vcc_lo
	v_cmp_ne_u32_e32 vcc_lo, v14, v9
	v_add_nc_u32_e32 v14, 0xfffffc10, v16
	v_sub_nc_u32_e32 v16, 0x3f1, v22
	s_delay_alu instid0(VALU_DEP_4)
	v_and_or_b32 v12, 0xffe, v19, v12
	s_wait_alu 0xfffd
	v_cndmask_b32_e64 v9, 0, 1, vcc_lo
	v_cmp_eq_u32_e32 vcc_lo, 0x40f, v21
	v_med3_i32 v16, v16, 0, 13
	v_lshrrev_b32_e32 v19, 8, v5
	v_bfe_u32 v21, v5, 20, 11
	v_or_b32_e32 v9, v17, v9
	s_wait_alu 0xfffd
	v_cndmask_b32_e32 v8, v8, v15, vcc_lo
	v_lshl_or_b32 v15, v14, 12, v2
	v_or_b32_e32 v17, 0x1000, v12
	v_cmp_gt_i32_e32 vcc_lo, 1, v14
	v_lshrrev_b32_e32 v5, 16, v5
	v_and_or_b32 v8, 0x8000, v11, v8
	v_sub_nc_u32_e32 v11, 0x3f1, v21
	s_wait_alu 0xfffd
	v_cndmask_b32_e32 v9, v15, v9, vcc_lo
	v_lshrrev_b32_e32 v15, v16, v17
	v_cmp_ne_u32_e32 vcc_lo, 0, v4
	v_med3_i32 v11, v11, 0, 13
	v_and_b32_e32 v8, 0xffff, v8
	v_and_b32_e32 v23, 7, v9
	v_lshlrev_b32_e32 v16, v16, v15
	s_wait_alu 0xfffd
	v_cndmask_b32_e64 v4, 0, 1, vcc_lo
	v_lshrrev_b32_e32 v9, 2, v9
	v_cmp_lt_i32_e32 vcc_lo, 5, v23
	v_cmp_ne_u32_e64 s0, v16, v17
	s_delay_alu instid0(VALU_DEP_4) | instskip(SKIP_2) | instid1(VALU_DEP_3)
	v_and_or_b32 v4, 0xffe, v19, v4
	v_add_nc_u32_e32 v19, 0xfffffc10, v22
	s_wait_alu 0xf1ff
	v_cndmask_b32_e64 v16, 0, 1, s0
	v_cmp_eq_u32_e64 s0, 3, v23
	v_or_b32_e32 v17, 0x1000, v4
	v_lshl_or_b32 v22, v19, 12, v12
	s_delay_alu instid0(VALU_DEP_4) | instskip(NEXT) | instid1(VALU_DEP_4)
	v_or_b32_e32 v15, v15, v16
	s_or_b32 vcc_lo, s0, vcc_lo
	s_delay_alu instid0(VALU_DEP_3) | instskip(SKIP_3) | instid1(VALU_DEP_3)
	v_lshrrev_b32_e32 v16, v11, v17
	s_wait_alu 0xfffe
	v_add_co_ci_u32_e32 v9, vcc_lo, 0, v9, vcc_lo
	v_cmp_gt_i32_e32 vcc_lo, 1, v19
	v_lshlrev_b32_e32 v11, v11, v16
	s_wait_alu 0xfffd
	v_cndmask_b32_e32 v15, v22, v15, vcc_lo
	v_cmp_ne_u32_e32 vcc_lo, 0, v2
	s_wait_alu 0xfffd
	v_cndmask_b32_e64 v2, 0, 1, vcc_lo
	v_cmp_ne_u32_e32 vcc_lo, v11, v17
	v_add_nc_u32_e32 v17, 0xfffffc10, v21
	v_and_b32_e32 v21, 7, v15
	s_delay_alu instid0(VALU_DEP_4)
	v_lshl_or_b32 v2, v2, 9, 0x7c00
	s_wait_alu 0xfffd
	v_cndmask_b32_e64 v11, 0, 1, vcc_lo
	v_cmp_gt_i32_e32 vcc_lo, 31, v14
	v_cmp_gt_i32_e64 s1, 1, v17
	v_cmp_eq_u32_e64 s0, 3, v21
	s_delay_alu instid0(VALU_DEP_4)
	v_or_b32_e32 v11, v16, v11
	v_lshl_or_b32 v16, v17, 12, v4
	s_wait_alu 0xfffd
	v_cndmask_b32_e32 v9, 0x7c00, v9, vcc_lo
	v_cmp_lt_i32_e32 vcc_lo, 5, v21
	s_wait_alu 0xf1ff
	v_cndmask_b32_e64 v11, v16, v11, s1
	v_cmp_eq_u32_e64 s1, 0x40f, v14
	s_or_b32 vcc_lo, s0, vcc_lo
	s_delay_alu instid0(VALU_DEP_2) | instskip(NEXT) | instid1(VALU_DEP_2)
	v_and_b32_e32 v14, 7, v11
	v_cndmask_b32_e64 v2, v9, v2, s1
	v_lshrrev_b32_e32 v9, 2, v15
	v_lshrrev_b32_e32 v11, 2, v11
	v_cmp_gt_i32_e64 s1, 31, v19
	v_cmp_eq_u32_e64 s0, 3, v14
	s_wait_alu 0xfffe
	v_add_co_ci_u32_e32 v9, vcc_lo, 0, v9, vcc_lo
	v_cmp_ne_u32_e32 vcc_lo, 0, v12
	s_wait_alu 0xf1ff
	s_delay_alu instid0(VALU_DEP_2) | instskip(SKIP_3) | instid1(VALU_DEP_2)
	v_cndmask_b32_e64 v9, 0x7c00, v9, s1
	s_wait_alu 0xfffd
	v_cndmask_b32_e64 v12, 0, 1, vcc_lo
	v_cmp_lt_i32_e32 vcc_lo, 5, v14
	v_lshl_or_b32 v12, v12, 9, 0x7c00
	s_or_b32 vcc_lo, s0, vcc_lo
	s_wait_alu 0xfffe
	v_add_co_ci_u32_e32 v11, vcc_lo, 0, v11, vcc_lo
	v_cmp_ne_u32_e32 vcc_lo, 0, v4
	s_wait_alu 0xfffd
	v_cndmask_b32_e64 v4, 0, 1, vcc_lo
	v_cmp_eq_u32_e32 vcc_lo, 0x40f, v19
	s_delay_alu instid0(VALU_DEP_2)
	v_lshl_or_b32 v4, v4, 9, 0x7c00
	s_wait_alu 0xfffd
	v_cndmask_b32_e32 v9, v9, v12, vcc_lo
	v_cmp_gt_i32_e32 vcc_lo, 31, v17
	v_lshrrev_b32_e32 v12, 16, v13
	v_and_or_b32 v13, 0x8000, v3, v2
	s_wait_alu 0xfffd
	v_cndmask_b32_e32 v11, 0x7c00, v11, vcc_lo
	v_cmp_eq_u32_e32 vcc_lo, 0x40f, v17
	v_and_or_b32 v9, 0x8000, v12, v9
	s_wait_alu 0xfffd
	s_delay_alu instid0(VALU_DEP_3)
	v_cndmask_b32_e32 v4, v11, v4, vcc_lo
	v_add_co_u32 v2, vcc_lo, v6, s20
	s_wait_alu 0xfffd
	v_add_co_ci_u32_e32 v3, vcc_lo, s21, v7, vcc_lo
	v_lshl_or_b32 v11, v13, 16, v8
	v_and_or_b32 v8, 0x8000, v5, v4
	v_and_b32_e32 v9, 0xffff, v9
	v_add_co_u32 v4, vcc_lo, v2, s20
	s_wait_alu 0xfffd
	v_add_co_ci_u32_e32 v5, vcc_lo, s21, v3, vcc_lo
	s_delay_alu instid0(VALU_DEP_3) | instskip(NEXT) | instid1(VALU_DEP_3)
	v_lshl_or_b32 v12, v8, 16, v9
	v_add_co_u32 v8, vcc_lo, v4, s20
	s_wait_alu 0xfffd
	s_delay_alu instid0(VALU_DEP_3)
	v_add_co_ci_u32_e32 v9, vcc_lo, s21, v5, vcc_lo
	global_store_b32 v[0:1], v18, off
	global_store_b32 v[6:7], v20, off
	;; [unrolled: 1-line block ×5, first 2 shown]
.LBB0_23:
	s_nop 0
	s_sendmsg sendmsg(MSG_DEALLOC_VGPRS)
	s_endpgm
	.section	.rodata,"a",@progbits
	.p2align	6, 0x0
	.amdhsa_kernel bluestein_single_back_len1540_dim1_half_op_CI_CI
		.amdhsa_group_segment_fixed_size 6160
		.amdhsa_private_segment_fixed_size 0
		.amdhsa_kernarg_size 104
		.amdhsa_user_sgpr_count 2
		.amdhsa_user_sgpr_dispatch_ptr 0
		.amdhsa_user_sgpr_queue_ptr 0
		.amdhsa_user_sgpr_kernarg_segment_ptr 1
		.amdhsa_user_sgpr_dispatch_id 0
		.amdhsa_user_sgpr_private_segment_size 0
		.amdhsa_wavefront_size32 1
		.amdhsa_uses_dynamic_stack 0
		.amdhsa_enable_private_segment 0
		.amdhsa_system_sgpr_workgroup_id_x 1
		.amdhsa_system_sgpr_workgroup_id_y 0
		.amdhsa_system_sgpr_workgroup_id_z 0
		.amdhsa_system_sgpr_workgroup_info 0
		.amdhsa_system_vgpr_workitem_id 0
		.amdhsa_next_free_vgpr 176
		.amdhsa_next_free_sgpr 24
		.amdhsa_reserve_vcc 1
		.amdhsa_float_round_mode_32 0
		.amdhsa_float_round_mode_16_64 0
		.amdhsa_float_denorm_mode_32 3
		.amdhsa_float_denorm_mode_16_64 3
		.amdhsa_fp16_overflow 0
		.amdhsa_workgroup_processor_mode 1
		.amdhsa_memory_ordered 1
		.amdhsa_forward_progress 0
		.amdhsa_round_robin_scheduling 0
		.amdhsa_exception_fp_ieee_invalid_op 0
		.amdhsa_exception_fp_denorm_src 0
		.amdhsa_exception_fp_ieee_div_zero 0
		.amdhsa_exception_fp_ieee_overflow 0
		.amdhsa_exception_fp_ieee_underflow 0
		.amdhsa_exception_fp_ieee_inexact 0
		.amdhsa_exception_int_div_zero 0
	.end_amdhsa_kernel
	.text
.Lfunc_end0:
	.size	bluestein_single_back_len1540_dim1_half_op_CI_CI, .Lfunc_end0-bluestein_single_back_len1540_dim1_half_op_CI_CI
                                        ; -- End function
	.section	.AMDGPU.csdata,"",@progbits
; Kernel info:
; codeLenInByte = 23264
; NumSgprs: 26
; NumVgprs: 176
; ScratchSize: 0
; MemoryBound: 0
; FloatMode: 240
; IeeeMode: 1
; LDSByteSize: 6160 bytes/workgroup (compile time only)
; SGPRBlocks: 3
; VGPRBlocks: 21
; NumSGPRsForWavesPerEU: 26
; NumVGPRsForWavesPerEU: 176
; Occupancy: 8
; WaveLimiterHint : 1
; COMPUTE_PGM_RSRC2:SCRATCH_EN: 0
; COMPUTE_PGM_RSRC2:USER_SGPR: 2
; COMPUTE_PGM_RSRC2:TRAP_HANDLER: 0
; COMPUTE_PGM_RSRC2:TGID_X_EN: 1
; COMPUTE_PGM_RSRC2:TGID_Y_EN: 0
; COMPUTE_PGM_RSRC2:TGID_Z_EN: 0
; COMPUTE_PGM_RSRC2:TIDIG_COMP_CNT: 0
	.text
	.p2alignl 7, 3214868480
	.fill 96, 4, 3214868480
	.type	__hip_cuid_a5ba767a52d316a,@object ; @__hip_cuid_a5ba767a52d316a
	.section	.bss,"aw",@nobits
	.globl	__hip_cuid_a5ba767a52d316a
__hip_cuid_a5ba767a52d316a:
	.byte	0                               ; 0x0
	.size	__hip_cuid_a5ba767a52d316a, 1

	.ident	"AMD clang version 19.0.0git (https://github.com/RadeonOpenCompute/llvm-project roc-6.4.0 25133 c7fe45cf4b819c5991fe208aaa96edf142730f1d)"
	.section	".note.GNU-stack","",@progbits
	.addrsig
	.addrsig_sym __hip_cuid_a5ba767a52d316a
	.amdgpu_metadata
---
amdhsa.kernels:
  - .args:
      - .actual_access:  read_only
        .address_space:  global
        .offset:         0
        .size:           8
        .value_kind:     global_buffer
      - .actual_access:  read_only
        .address_space:  global
        .offset:         8
        .size:           8
        .value_kind:     global_buffer
      - .actual_access:  read_only
        .address_space:  global
        .offset:         16
        .size:           8
        .value_kind:     global_buffer
      - .actual_access:  read_only
        .address_space:  global
        .offset:         24
        .size:           8
        .value_kind:     global_buffer
      - .actual_access:  read_only
        .address_space:  global
        .offset:         32
        .size:           8
        .value_kind:     global_buffer
      - .offset:         40
        .size:           8
        .value_kind:     by_value
      - .address_space:  global
        .offset:         48
        .size:           8
        .value_kind:     global_buffer
      - .address_space:  global
        .offset:         56
        .size:           8
        .value_kind:     global_buffer
      - .address_space:  global
        .offset:         64
        .size:           8
        .value_kind:     global_buffer
      - .address_space:  global
        .offset:         72
        .size:           8
        .value_kind:     global_buffer
      - .offset:         80
        .size:           4
        .value_kind:     by_value
      - .address_space:  global
        .offset:         88
        .size:           8
        .value_kind:     global_buffer
      - .address_space:  global
        .offset:         96
        .size:           8
        .value_kind:     global_buffer
    .group_segment_fixed_size: 6160
    .kernarg_segment_align: 8
    .kernarg_segment_size: 104
    .language:       OpenCL C
    .language_version:
      - 2
      - 0
    .max_flat_workgroup_size: 154
    .name:           bluestein_single_back_len1540_dim1_half_op_CI_CI
    .private_segment_fixed_size: 0
    .sgpr_count:     26
    .sgpr_spill_count: 0
    .symbol:         bluestein_single_back_len1540_dim1_half_op_CI_CI.kd
    .uniform_work_group_size: 1
    .uses_dynamic_stack: false
    .vgpr_count:     176
    .vgpr_spill_count: 0
    .wavefront_size: 32
    .workgroup_processor_mode: 1
amdhsa.target:   amdgcn-amd-amdhsa--gfx1201
amdhsa.version:
  - 1
  - 2
...

	.end_amdgpu_metadata
